;; amdgpu-corpus repo=ROCm/rocFFT kind=compiled arch=gfx1201 opt=O3
	.text
	.amdgcn_target "amdgcn-amd-amdhsa--gfx1201"
	.amdhsa_code_object_version 6
	.protected	bluestein_single_back_len792_dim1_dp_op_CI_CI ; -- Begin function bluestein_single_back_len792_dim1_dp_op_CI_CI
	.globl	bluestein_single_back_len792_dim1_dp_op_CI_CI
	.p2align	8
	.type	bluestein_single_back_len792_dim1_dp_op_CI_CI,@function
bluestein_single_back_len792_dim1_dp_op_CI_CI: ; @bluestein_single_back_len792_dim1_dp_op_CI_CI
; %bb.0:
	s_load_b128 s[8:11], s[0:1], 0x28
	v_mul_u32_u24_e32 v1, 0x2e9, v0
	v_mov_b32_e32 v6, 0
	s_mov_b32 s2, exec_lo
	s_delay_alu instid0(VALU_DEP_2) | instskip(NEXT) | instid1(VALU_DEP_1)
	v_lshrrev_b32_e32 v2, 16, v1
	v_lshl_add_u32 v5, ttmp9, 1, v2
	s_wait_kmcnt 0x0
	s_delay_alu instid0(VALU_DEP_1)
	v_cmpx_gt_u64_e64 s[8:9], v[5:6]
	s_cbranch_execz .LBB0_39
; %bb.1:
	s_clause 0x1
	s_load_b128 s[4:7], s[0:1], 0x18
	s_load_b64 s[16:17], s[0:1], 0x0
	v_mul_lo_u16 v1, 0x58, v2
	v_mov_b32_e32 v6, v5
	s_movk_i32 s2, 0xfecc
	s_mov_b32 s3, -1
	s_delay_alu instid0(VALU_DEP_2)
	v_sub_nc_u16 v13, v0, v1
	scratch_store_b64 off, v[6:7], off offset:12 ; 8-byte Folded Spill
	s_wait_kmcnt 0x0
	s_load_b128 s[12:15], s[4:5], 0x0
	s_wait_kmcnt 0x0
	v_mad_co_u64_u32 v[0:1], null, s14, v5, 0
	s_mul_u64 s[4:5], s[12:13], 0x18c
	s_mul_u64 s[2:3], s[12:13], s[2:3]
	s_delay_alu instid0(SALU_CYCLE_1) | instskip(NEXT) | instid1(VALU_DEP_1)
	s_lshl_b64 s[2:3], s[2:3], 4
	v_mad_co_u64_u32 v[5:6], null, s15, v5, v[1:2]
	v_and_b32_e32 v14, 0xffff, v13
	s_delay_alu instid0(VALU_DEP_2) | instskip(NEXT) | instid1(VALU_DEP_2)
	v_dual_mov_b32 v1, v5 :: v_dual_and_b32 v2, 1, v2
	v_mad_co_u64_u32 v[3:4], null, s12, v14, 0
	v_lshlrev_b32_e32 v158, 4, v14
	s_clause 0x1
	global_load_b128 v[15:18], v158, s[16:17]
	global_load_b128 v[19:22], v158, s[16:17] offset:1408
	v_mad_co_u64_u32 v[6:7], null, s13, v14, v[4:5]
	v_lshlrev_b64_e32 v[0:1], 4, v[0:1]
	s_clause 0x3
	global_load_b128 v[86:89], v158, s[16:17] offset:6336
	global_load_b128 v[90:93], v158, s[16:17] offset:7744
	;; [unrolled: 1-line block ×4, first 2 shown]
	v_add_co_u32 v0, vcc_lo, s10, v0
	v_mov_b32_e32 v4, v6
	v_add_co_ci_u32_e32 v1, vcc_lo, s11, v1, vcc_lo
	s_lshl_b64 s[10:11], s[4:5], 4
	s_delay_alu instid0(VALU_DEP_2) | instskip(NEXT) | instid1(VALU_DEP_1)
	v_lshlrev_b64_e32 v[3:4], 4, v[3:4]
	v_add_co_u32 v0, vcc_lo, v0, v3
	s_wait_alu 0xfffd
	s_delay_alu instid0(VALU_DEP_2) | instskip(SKIP_1) | instid1(VALU_DEP_2)
	v_add_co_ci_u32_e32 v1, vcc_lo, v1, v4, vcc_lo
	s_wait_alu 0xfffe
	v_add_co_u32 v7, vcc_lo, v0, s10
	s_wait_alu 0xfffd
	s_delay_alu instid0(VALU_DEP_2)
	v_add_co_ci_u32_e32 v8, vcc_lo, s11, v1, vcc_lo
	global_load_b128 v[3:6], v[0:1], off
	v_add_co_u32 v11, vcc_lo, v7, s2
	s_wait_alu 0xfffd
	v_add_co_ci_u32_e32 v12, vcc_lo, s3, v8, vcc_lo
	s_clause 0x1
	global_load_b128 v[7:10], v[7:8], off
	global_load_b128 v[32:35], v[11:12], off
	v_add_co_u32 v24, vcc_lo, v11, s10
	s_wait_alu 0xfffd
	v_add_co_ci_u32_e32 v25, vcc_lo, s11, v12, vcc_lo
	s_delay_alu instid0(VALU_DEP_2) | instskip(SKIP_1) | instid1(VALU_DEP_2)
	v_add_co_u32 v26, vcc_lo, v24, s2
	s_wait_alu 0xfffd
	v_add_co_ci_u32_e32 v27, vcc_lo, s3, v25, vcc_lo
	s_clause 0x1
	global_load_b128 v[36:39], v[24:25], off
	global_load_b128 v[40:43], v[26:27], off
	v_add_co_u32 v28, vcc_lo, v26, s10
	s_wait_alu 0xfffd
	v_add_co_ci_u32_e32 v29, vcc_lo, s11, v27, vcc_lo
	s_delay_alu instid0(VALU_DEP_2) | instskip(SKIP_1) | instid1(VALU_DEP_2)
	v_add_co_u32 v11, vcc_lo, v28, s2
	s_wait_alu 0xfffd
	v_add_co_ci_u32_e32 v12, vcc_lo, s3, v29, vcc_lo
	s_delay_alu instid0(VALU_DEP_2) | instskip(SKIP_1) | instid1(VALU_DEP_2)
	v_add_co_u32 v0, vcc_lo, v11, s10
	s_wait_alu 0xfffd
	v_add_co_ci_u32_e32 v1, vcc_lo, s11, v12, vcc_lo
	global_load_b128 v[44:47], v[28:29], off
	global_load_b128 v[23:26], v158, s[16:17] offset:4224
	global_load_b128 v[48:51], v[11:12], off
	global_load_b128 v[27:30], v158, s[16:17] offset:10560
	global_load_b128 v[52:55], v[0:1], off
	v_cmp_eq_u32_e32 vcc_lo, 1, v2
	s_wait_alu 0xfffd
	v_cndmask_b32_e64 v2, 0, 0x318, vcc_lo
	v_cmp_gt_u16_e32 vcc_lo, 44, v13
	s_delay_alu instid0(VALU_DEP_2)
	v_lshlrev_b32_e32 v255, 4, v2
	s_wait_loadcnt 0xf
	scratch_store_b128 off, v[15:18], off offset:20 ; 16-byte Folded Spill
	s_wait_loadcnt 0xe
	scratch_store_b128 off, v[19:22], off offset:36 ; 16-byte Folded Spill
	;; [unrolled: 2-line block ×6, first 2 shown]
	s_wait_loadcnt 0x9
	v_mul_f64_e32 v[11:12], v[5:6], v[17:18]
	v_mul_f64_e32 v[56:57], v[3:4], v[17:18]
	s_wait_loadcnt 0x8
	v_mul_f64_e32 v[58:59], v[9:10], v[88:89]
	s_wait_loadcnt 0x7
	v_mul_f64_e32 v[62:63], v[34:35], v[21:22]
	v_mul_f64_e32 v[64:65], v[32:33], v[21:22]
	v_mul_f64_e32 v[60:61], v[7:8], v[88:89]
	s_wait_loadcnt 0x6
	v_mul_f64_e32 v[66:67], v[38:39], v[92:93]
	s_wait_loadcnt 0x5
	v_mul_f64_e32 v[70:71], v[42:43], v[96:97]
	v_mul_f64_e32 v[72:73], v[40:41], v[96:97]
	;; [unrolled: 1-line block ×3, first 2 shown]
	s_wait_loadcnt 0x4
	v_mul_f64_e32 v[74:75], v[46:47], v[100:101]
	v_mul_f64_e32 v[76:77], v[44:45], v[100:101]
	s_wait_loadcnt 0x2
	v_mul_f64_e32 v[78:79], v[50:51], v[25:26]
	v_mul_f64_e32 v[80:81], v[48:49], v[25:26]
	;; [unrolled: 3-line block ×3, first 2 shown]
	s_clause 0x1
	scratch_store_b128 off, v[23:26], off offset:116
	scratch_store_b128 off, v[27:30], off offset:132
	v_fma_f64 v[3:4], v[3:4], v[15:16], v[11:12]
	v_fma_f64 v[5:6], v[5:6], v[15:16], -v[56:57]
	s_load_b64 s[8:9], s[0:1], 0x38
	s_load_b128 s[4:7], s[6:7], 0x0
	v_add_co_u32 v11, s12, s16, v158
	v_add_nc_u32_e32 v15, v255, v158
	v_fma_f64 v[7:8], v[7:8], v[86:87], v[58:59]
	v_fma_f64 v[32:33], v[32:33], v[19:20], v[62:63]
	v_fma_f64 v[34:35], v[34:35], v[19:20], -v[64:65]
	v_fma_f64 v[9:10], v[9:10], v[86:87], -v[60:61]
	s_wait_alu 0xf1ff
	v_add_co_ci_u32_e64 v12, null, s17, 0, s12
	scratch_store_b64 off, v[11:12], off    ; 8-byte Folded Spill
	v_fma_f64 v[36:37], v[36:37], v[90:91], v[66:67]
	v_fma_f64 v[40:41], v[40:41], v[94:95], v[70:71]
	v_fma_f64 v[42:43], v[42:43], v[94:95], -v[72:73]
	v_fma_f64 v[38:39], v[38:39], v[90:91], -v[68:69]
	ds_store_b128 v15, v[3:6]
	ds_store_b128 v15, v[32:35] offset:1408
	ds_store_b128 v15, v[7:10] offset:6336
	;; [unrolled: 1-line block ×3, first 2 shown]
	v_fma_f64 v[48:49], v[48:49], v[23:24], v[78:79]
	v_fma_f64 v[50:51], v[50:51], v[23:24], -v[80:81]
	v_fma_f64 v[44:45], v[44:45], v[98:99], v[74:75]
	v_fma_f64 v[46:47], v[46:47], v[98:99], -v[76:77]
	;; [unrolled: 2-line block ×3, first 2 shown]
	ds_store_b128 v15, v[40:43] offset:2816
	ds_store_b128 v15, v[48:51] offset:4224
	;; [unrolled: 1-line block ×4, first 2 shown]
	s_and_saveexec_b32 s12, vcc_lo
	s_cbranch_execz .LBB0_3
; %bb.2:
	v_add_co_u32 v0, s2, v0, s2
	s_wait_alu 0xf1ff
	v_add_co_ci_u32_e64 v1, s2, s3, v1, s2
	s_delay_alu instid0(VALU_DEP_2) | instskip(SKIP_1) | instid1(VALU_DEP_2)
	v_add_co_u32 v12, s2, v0, s10
	s_wait_alu 0xf1ff
	v_add_co_ci_u32_e64 v13, s2, s11, v1, s2
	global_load_b128 v[0:3], v[0:1], off
	scratch_load_b64 v[8:9], off, off       ; 8-byte Folded Reload
	s_wait_loadcnt 0x0
	s_clause 0x1
	global_load_b128 v[4:7], v[8:9], off offset:5632
	global_load_b128 v[8:11], v[8:9], off offset:11968
	global_load_b128 v[32:35], v[12:13], off
	s_wait_loadcnt 0x2
	v_mul_f64_e32 v[12:13], v[2:3], v[6:7]
	v_mul_f64_e32 v[6:7], v[0:1], v[6:7]
	s_wait_loadcnt 0x0
	v_mul_f64_e32 v[36:37], v[34:35], v[10:11]
	v_mul_f64_e32 v[10:11], v[32:33], v[10:11]
	s_delay_alu instid0(VALU_DEP_4) | instskip(NEXT) | instid1(VALU_DEP_4)
	v_fma_f64 v[0:1], v[0:1], v[4:5], v[12:13]
	v_fma_f64 v[2:3], v[2:3], v[4:5], -v[6:7]
	s_delay_alu instid0(VALU_DEP_4) | instskip(NEXT) | instid1(VALU_DEP_4)
	v_fma_f64 v[4:5], v[32:33], v[8:9], v[36:37]
	v_fma_f64 v[6:7], v[34:35], v[8:9], -v[10:11]
	ds_store_b128 v15, v[0:3] offset:5632
	ds_store_b128 v15, v[4:7] offset:11968
.LBB0_3:
	s_wait_alu 0xfffe
	s_or_b32 exec_lo, exec_lo, s12
	global_wb scope:SCOPE_SE
	s_wait_storecnt_dscnt 0x0
	s_wait_kmcnt 0x0
	s_barrier_signal -1
	s_barrier_wait -1
	global_inv scope:SCOPE_SE
	ds_load_b128 v[32:35], v15
	ds_load_b128 v[36:39], v15 offset:1408
	ds_load_b128 v[68:71], v15 offset:6336
	;; [unrolled: 1-line block ×7, first 2 shown]
                                        ; implicit-def: $vgpr52_vgpr53
                                        ; implicit-def: $vgpr56_vgpr57
	s_and_saveexec_b32 s2, vcc_lo
	s_cbranch_execz .LBB0_5
; %bb.4:
	ds_load_b128 v[52:55], v15 offset:5632
	ds_load_b128 v[56:59], v15 offset:11968
.LBB0_5:
	s_wait_alu 0xfffe
	s_or_b32 exec_lo, exec_lo, s2
	s_wait_dscnt 0x5
	v_add_f64_e64 v[7:8], v[32:33], -v[68:69]
	v_add_f64_e64 v[9:10], v[34:35], -v[70:71]
	s_wait_dscnt 0x4
	v_add_f64_e64 v[64:65], v[36:37], -v[64:65]
	v_add_f64_e64 v[66:67], v[38:39], -v[66:67]
	;; [unrolled: 3-line block ×3, first 2 shown]
	v_add_f64_e64 v[40:41], v[52:53], -v[56:57]
	v_add_f64_e64 v[42:43], v[54:55], -v[58:59]
	;; [unrolled: 1-line block ×4, first 2 shown]
	s_load_b64 s[2:3], s[0:1], 0x8
	v_add_co_u32 v0, s0, 0x58, v14
	s_wait_alu 0xf1ff
	v_add_co_ci_u32_e64 v1, null, 0, 0, s0
	v_add_co_u32 v1, s0, 0xb0, v14
	s_wait_alu 0xf1ff
	v_add_co_ci_u32_e64 v2, null, 0, 0, s0
	v_lshlrev_b32_e32 v2, 1, v14
	v_add_co_u32 v6, null, 0x160, v14
	global_wb scope:SCOPE_SE
	s_wait_kmcnt 0x0
	s_barrier_signal -1
	v_add_nc_u32_e32 v4, 0x210, v2
	v_lshl_add_u32 v11, v6, 5, v255
	s_barrier_wait -1
	global_inv scope:SCOPE_SE
	v_lshl_add_u32 v12, v14, 5, v255
	v_lshlrev_b32_e32 v3, 1, v0
	v_lshl_add_u32 v16, v0, 5, v255
	v_lshlrev_b32_e32 v5, 1, v1
	v_lshl_add_u32 v13, v1, 5, v255
	scratch_store_b32 off, v11, off offset:216 ; 4-byte Folded Spill
	v_lshl_add_u32 v11, v4, 4, v255
	v_fma_f64 v[32:33], v[32:33], 2.0, -v[7:8]
	v_fma_f64 v[34:35], v[34:35], 2.0, -v[9:10]
	;; [unrolled: 1-line block ×10, first 2 shown]
	ds_store_b128 v12, v[32:35]
	ds_store_b128 v12, v[7:10] offset:16
	ds_store_b128 v16, v[56:59]
	scratch_store_b32 off, v16, off offset:156 ; 4-byte Folded Spill
	ds_store_b128 v16, v[64:67] offset:16
	ds_store_b128 v13, v[44:47]
	scratch_store_b32 off, v13, off offset:148 ; 4-byte Folded Spill
	;; [unrolled: 3-line block ×3, first 2 shown]
	ds_store_b128 v11, v[68:71] offset:16
	s_and_saveexec_b32 s0, vcc_lo
	s_cbranch_execz .LBB0_7
; %bb.6:
	v_lshl_add_u32 v7, v6, 5, v255
	ds_store_b128 v7, v[36:39]
	ds_store_b128 v7, v[40:43] offset:16
.LBB0_7:
	s_wait_alu 0xfffe
	s_or_b32 exec_lo, exec_lo, s0
	global_wb scope:SCOPE_SE
	s_wait_storecnt_dscnt 0x0
	s_barrier_signal -1
	s_barrier_wait -1
	global_inv scope:SCOPE_SE
	ds_load_b128 v[48:51], v15
	ds_load_b128 v[52:55], v15 offset:1408
	ds_load_b128 v[64:67], v15 offset:6336
	;; [unrolled: 1-line block ×7, first 2 shown]
	s_and_saveexec_b32 s0, vcc_lo
	s_cbranch_execz .LBB0_9
; %bb.8:
	ds_load_b128 v[36:39], v15 offset:5632
	ds_load_b128 v[40:43], v15 offset:11968
.LBB0_9:
	s_wait_alu 0xfffe
	s_or_b32 exec_lo, exec_lo, s0
	v_and_b32_e32 v13, 1, v14
	v_lshlrev_b32_e32 v6, 1, v6
	s_delay_alu instid0(VALU_DEP_2)
	v_lshlrev_b32_e32 v7, 4, v13
	scratch_store_b32 off, v6, off offset:8 ; 4-byte Folded Spill
	v_and_or_b32 v6, 0xfc, v2, v13
	global_load_b128 v[32:35], v7, s[2:3]
	global_wb scope:SCOPE_SE
	s_wait_storecnt 0x0
	s_wait_loadcnt_dscnt 0x0
	v_lshl_add_u32 v17, v6, 4, v255
	s_barrier_signal -1
	s_barrier_wait -1
	global_inv scope:SCOPE_SE
	scratch_store_b32 off, v17, off offset:176 ; 4-byte Folded Spill
	v_mul_f64_e32 v[7:8], v[66:67], v[34:35]
	v_mul_f64_e32 v[9:10], v[64:65], v[34:35]
	;; [unrolled: 1-line block ×10, first 2 shown]
	v_fma_f64 v[7:8], v[64:65], v[32:33], -v[7:8]
	v_fma_f64 v[9:10], v[66:67], v[32:33], v[9:10]
	v_fma_f64 v[11:12], v[44:45], v[32:33], -v[11:12]
	v_fma_f64 v[44:45], v[46:47], v[32:33], v[76:77]
	v_fma_f64 v[46:47], v[72:73], v[32:33], -v[78:79]
	v_fma_f64 v[40:41], v[40:41], v[32:33], -v[86:87]
	v_fma_f64 v[42:43], v[42:43], v[32:33], v[88:89]
	v_fma_f64 v[72:73], v[74:75], v[32:33], v[80:81]
	v_fma_f64 v[74:75], v[68:69], v[32:33], -v[82:83]
	v_fma_f64 v[76:77], v[70:71], v[32:33], v[84:85]
	v_add_f64_e64 v[7:8], v[48:49], -v[7:8]
	v_add_f64_e64 v[9:10], v[50:51], -v[9:10]
	;; [unrolled: 1-line block ×10, first 2 shown]
	v_and_or_b32 v11, 0x1fc, v3, v13
	v_and_or_b32 v12, 0x3fc, v5, v13
	;; [unrolled: 1-line block ×3, first 2 shown]
	s_delay_alu instid0(VALU_DEP_3) | instskip(NEXT) | instid1(VALU_DEP_3)
	v_lshl_add_u32 v16, v11, 4, v255
	v_lshl_add_u32 v11, v12, 4, v255
	s_delay_alu instid0(VALU_DEP_3)
	v_lshl_add_u32 v6, v13, 4, v255
	v_fma_f64 v[48:49], v[48:49], 2.0, -v[7:8]
	v_fma_f64 v[50:51], v[50:51], 2.0, -v[9:10]
	;; [unrolled: 1-line block ×10, first 2 shown]
	ds_store_b128 v17, v[48:51]
	ds_store_b128 v17, v[7:10] offset:32
	ds_store_b128 v16, v[52:55]
	scratch_store_b32 off, v16, off offset:168 ; 4-byte Folded Spill
	ds_store_b128 v16, v[64:67] offset:32
	ds_store_b128 v11, v[56:59]
	scratch_store_b32 off, v11, off offset:164 ; 4-byte Folded Spill
	;; [unrolled: 3-line block ×3, first 2 shown]
	ds_store_b128 v6, v[72:75] offset:32
	s_and_saveexec_b32 s0, vcc_lo
	s_cbranch_execz .LBB0_11
; %bb.10:
	scratch_load_b32 v6, off, off offset:8  ; 4-byte Folded Reload
	v_and_b32_e32 v7, 1, v14
	s_wait_loadcnt 0x0
	s_delay_alu instid0(VALU_DEP_1) | instskip(NEXT) | instid1(VALU_DEP_1)
	v_and_or_b32 v6, 0x3fc, v6, v7
	v_lshl_add_u32 v6, v6, 4, v255
	ds_store_b128 v6, v[40:43]
	ds_store_b128 v6, v[44:47] offset:32
.LBB0_11:
	s_wait_alu 0xfffe
	s_or_b32 exec_lo, exec_lo, s0
	global_wb scope:SCOPE_SE
	s_wait_storecnt_dscnt 0x0
	s_barrier_signal -1
	s_barrier_wait -1
	global_inv scope:SCOPE_SE
	ds_load_b128 v[52:55], v15
	ds_load_b128 v[56:59], v15 offset:1408
	ds_load_b128 v[68:71], v15 offset:6336
	;; [unrolled: 1-line block ×7, first 2 shown]
	s_and_saveexec_b32 s0, vcc_lo
	s_cbranch_execz .LBB0_13
; %bb.12:
	ds_load_b128 v[40:43], v15 offset:5632
	ds_load_b128 v[44:47], v15 offset:11968
.LBB0_13:
	s_wait_alu 0xfffe
	s_or_b32 exec_lo, exec_lo, s0
	v_and_b32_e32 v16, 3, v14
	s_delay_alu instid0(VALU_DEP_1)
	v_lshlrev_b32_e32 v6, 4, v16
	v_and_or_b32 v2, 0xf8, v2, v16
	v_and_or_b32 v3, 0x1f8, v3, v16
	;; [unrolled: 1-line block ×4, first 2 shown]
	global_load_b128 v[36:39], v6, s[2:3] offset:32
	v_lshl_add_u32 v17, v2, 4, v255
	v_lshl_add_u32 v16, v3, 4, v255
	;; [unrolled: 1-line block ×4, first 2 shown]
	global_wb scope:SCOPE_SE
	s_wait_loadcnt_dscnt 0x0
	s_barrier_signal -1
	s_barrier_wait -1
	global_inv scope:SCOPE_SE
	scratch_store_b32 off, v17, off offset:188 ; 4-byte Folded Spill
	v_mul_f64_e32 v[6:7], v[70:71], v[38:39]
	v_mul_f64_e32 v[8:9], v[68:69], v[38:39]
	;; [unrolled: 1-line block ×8, first 2 shown]
	v_fma_f64 v[6:7], v[68:69], v[36:37], -v[6:7]
	v_fma_f64 v[8:9], v[70:71], v[36:37], v[8:9]
	v_fma_f64 v[10:11], v[64:65], v[36:37], -v[10:11]
	v_fma_f64 v[12:13], v[66:67], v[36:37], v[12:13]
	;; [unrolled: 2-line block ×4, first 2 shown]
	v_mul_f64_e32 v[72:73], v[46:47], v[38:39]
	v_mul_f64_e32 v[74:75], v[44:45], v[38:39]
	v_add_f64_e64 v[6:7], v[52:53], -v[6:7]
	v_add_f64_e64 v[8:9], v[54:55], -v[8:9]
	;; [unrolled: 1-line block ×8, first 2 shown]
	v_fma_f64 v[72:73], v[44:45], v[36:37], -v[72:73]
	v_fma_f64 v[74:75], v[46:47], v[36:37], v[74:75]
	v_fma_f64 v[44:45], v[52:53], 2.0, -v[6:7]
	v_fma_f64 v[46:47], v[54:55], 2.0, -v[8:9]
	;; [unrolled: 1-line block ×8, first 2 shown]
	v_add_f64_e64 v[48:49], v[40:41], -v[72:73]
	v_add_f64_e64 v[50:51], v[42:43], -v[74:75]
	ds_store_b128 v17, v[44:47]
	ds_store_b128 v17, v[6:9] offset:64
	ds_store_b128 v16, v[52:55]
	scratch_store_b32 off, v16, off offset:184 ; 4-byte Folded Spill
	ds_store_b128 v16, v[10:13] offset:64
	ds_store_b128 v3, v[56:59]
	scratch_store_b32 off, v3, off offset:180 ; 4-byte Folded Spill
	;; [unrolled: 3-line block ×3, first 2 shown]
	ds_store_b128 v2, v[68:71] offset:64
	s_and_saveexec_b32 s0, vcc_lo
	s_cbranch_execz .LBB0_15
; %bb.14:
	scratch_load_b32 v6, off, off offset:8  ; 4-byte Folded Reload
	v_fma_f64 v[4:5], v[42:43], 2.0, -v[50:51]
	v_fma_f64 v[2:3], v[40:41], 2.0, -v[48:49]
	v_and_b32_e32 v7, 3, v14
	s_wait_loadcnt 0x0
	s_delay_alu instid0(VALU_DEP_1) | instskip(NEXT) | instid1(VALU_DEP_1)
	v_and_or_b32 v6, 0x3f8, v6, v7
	v_lshl_add_u32 v6, v6, 4, v255
	ds_store_b128 v6, v[2:5]
	ds_store_b128 v6, v[48:51] offset:64
.LBB0_15:
	s_wait_alu 0xfffe
	s_or_b32 exec_lo, exec_lo, s0
	v_and_b32_e32 v16, 7, v14
	global_wb scope:SCOPE_SE
	s_wait_storecnt_dscnt 0x0
	s_barrier_signal -1
	s_barrier_wait -1
	global_inv scope:SCOPE_SE
	v_lshlrev_b32_e32 v2, 5, v16
	s_mov_b32 s0, 0xe8584caa
	s_mov_b32 s1, 0x3febb67a
	;; [unrolled: 1-line block ×3, first 2 shown]
	s_wait_alu 0xfffe
	s_mov_b32 s10, s0
	s_clause 0x1
	global_load_b128 v[60:63], v2, s[2:3] offset:96
	global_load_b128 v[56:59], v2, s[2:3] offset:112
	ds_load_b128 v[2:5], v15 offset:4224
	ds_load_b128 v[6:9], v15 offset:8448
	;; [unrolled: 1-line block ×7, first 2 shown]
	v_and_b32_e32 v19, 0xff, v0
	v_and_b32_e32 v20, 0xffff, v1
	v_and_b32_e32 v18, 0xff, v14
	v_lshrrev_b32_e32 v17, 3, v1
	s_delay_alu instid0(VALU_DEP_4) | instskip(NEXT) | instid1(VALU_DEP_4)
	v_mul_lo_u16 v19, 0xab, v19
	v_mul_u32_u24_e32 v20, 0xaaab, v20
	s_delay_alu instid0(VALU_DEP_4) | instskip(NEXT) | instid1(VALU_DEP_4)
	v_mul_lo_u16 v18, 0xab, v18
	v_mul_u32_u24_e32 v17, 24, v17
	s_delay_alu instid0(VALU_DEP_4) | instskip(NEXT) | instid1(VALU_DEP_4)
	v_lshrrev_b16 v19, 12, v19
	v_lshrrev_b32_e32 v20, 20, v20
	s_delay_alu instid0(VALU_DEP_4) | instskip(NEXT) | instid1(VALU_DEP_3)
	v_lshrrev_b16 v18, 12, v18
	v_mul_lo_u16 v24, v19, 24
	s_delay_alu instid0(VALU_DEP_3) | instskip(NEXT) | instid1(VALU_DEP_3)
	v_mul_lo_u16 v25, v20, 24
	v_mul_lo_u16 v23, v18, 24
	s_delay_alu instid0(VALU_DEP_1)
	v_sub_nc_u16 v23, v14, v23
	s_wait_loadcnt_dscnt 0x106
	v_mul_f64_e32 v[68:69], v[4:5], v[62:63]
	s_wait_loadcnt_dscnt 0x5
	v_mul_f64_e32 v[70:71], v[8:9], v[58:59]
	v_mul_f64_e32 v[72:73], v[2:3], v[62:63]
	;; [unrolled: 1-line block ×3, first 2 shown]
	s_wait_dscnt 0x4
	v_mul_f64_e32 v[76:77], v[12:13], v[62:63]
	s_wait_dscnt 0x3
	v_mul_f64_e32 v[78:79], v[42:43], v[58:59]
	v_mul_f64_e32 v[80:81], v[10:11], v[62:63]
	;; [unrolled: 1-line block ×3, first 2 shown]
	s_wait_dscnt 0x2
	v_mul_f64_e32 v[84:85], v[46:47], v[62:63]
	s_wait_dscnt 0x1
	v_mul_f64_e32 v[86:87], v[54:55], v[58:59]
	v_mul_f64_e32 v[88:89], v[44:45], v[62:63]
	;; [unrolled: 1-line block ×3, first 2 shown]
	v_fma_f64 v[68:69], v[2:3], v[60:61], -v[68:69]
	v_fma_f64 v[70:71], v[6:7], v[56:57], -v[70:71]
	v_fma_f64 v[72:73], v[4:5], v[60:61], v[72:73]
	v_fma_f64 v[74:75], v[8:9], v[56:57], v[74:75]
	v_fma_f64 v[10:11], v[10:11], v[60:61], -v[76:77]
	v_fma_f64 v[40:41], v[40:41], v[56:57], -v[78:79]
	v_fma_f64 v[12:13], v[12:13], v[60:61], v[80:81]
	v_fma_f64 v[42:43], v[42:43], v[56:57], v[82:83]
	v_fma_f64 v[44:45], v[44:45], v[60:61], -v[84:85]
	v_fma_f64 v[52:53], v[52:53], v[56:57], -v[86:87]
	v_fma_f64 v[46:47], v[46:47], v[60:61], v[88:89]
	v_fma_f64 v[54:55], v[54:55], v[56:57], v[90:91]
	ds_load_b128 v[2:5], v15
	ds_load_b128 v[6:9], v15 offset:1408
	global_wb scope:SCOPE_SE
	s_wait_dscnt 0x0
	s_barrier_signal -1
	s_barrier_wait -1
	global_inv scope:SCOPE_SE
	v_add_f64_e32 v[88:89], v[2:3], v[68:69]
	v_add_f64_e32 v[76:77], v[68:69], v[70:71]
	v_add_f64_e64 v[68:69], v[68:69], -v[70:71]
	v_add_f64_e32 v[78:79], v[72:73], v[74:75]
	v_add_f64_e64 v[90:91], v[72:73], -v[74:75]
	v_add_f64_e32 v[80:81], v[10:11], v[40:41]
	v_add_f64_e32 v[72:73], v[4:5], v[72:73]
	;; [unrolled: 1-line block ×3, first 2 shown]
	v_add_f64_e64 v[100:101], v[12:13], -v[42:43]
	v_add_f64_e32 v[84:85], v[44:45], v[52:53]
	v_add_f64_e64 v[102:103], v[10:11], -v[40:41]
	v_add_f64_e32 v[86:87], v[46:47], v[54:55]
	v_add_f64_e64 v[104:105], v[46:47], -v[54:55]
	v_add_f64_e64 v[106:107], v[44:45], -v[52:53]
	v_add_f64_e32 v[92:93], v[6:7], v[10:11]
	v_add_f64_e32 v[94:95], v[8:9], v[12:13]
	;; [unrolled: 1-line block ×4, first 2 shown]
	v_fma_f64 v[76:77], v[76:77], -0.5, v[2:3]
	v_lshrrev_b32_e32 v2, 3, v14
	v_fma_f64 v[78:79], v[78:79], -0.5, v[4:5]
	v_lshrrev_b32_e32 v3, 3, v0
	v_fma_f64 v[80:81], v[80:81], -0.5, v[6:7]
	v_add_f64_e32 v[4:5], v[72:73], v[74:75]
	v_fma_f64 v[82:83], v[82:83], -0.5, v[8:9]
	v_mul_u32_u24_e32 v21, 24, v2
	v_fma_f64 v[84:85], v[84:85], -0.5, v[64:65]
	v_mul_u32_u24_e32 v22, 24, v3
	v_fma_f64 v[86:87], v[86:87], -0.5, v[66:67]
	v_add_f64_e32 v[2:3], v[88:89], v[70:71]
	v_sub_nc_u16 v0, v0, v24
	v_add_f64_e32 v[6:7], v[92:93], v[40:41]
	v_add_f64_e32 v[8:9], v[94:95], v[42:43]
	v_add_f64_e32 v[10:11], v[96:97], v[52:53]
	v_add_f64_e32 v[12:13], v[98:99], v[54:55]
	v_sub_nc_u16 v24, v1, v25
	v_or_b32_e32 v1, v17, v16
	v_and_b32_e32 v17, 0xff, v0
	v_or_b32_e32 v21, v21, v16
	v_or_b32_e32 v22, v22, v16
	v_lshlrev_b16 v0, 5, v24
	v_and_b32_e32 v16, 0xff, v23
	s_delay_alu instid0(VALU_DEP_4) | instskip(NEXT) | instid1(VALU_DEP_4)
	v_lshl_add_u32 v25, v21, 4, v255
	v_lshl_add_u32 v23, v22, 4, v255
	s_delay_alu instid0(VALU_DEP_4) | instskip(SKIP_3) | instid1(VALU_DEP_4)
	v_and_b32_e32 v0, 0xffff, v0
	v_lshl_add_u32 v22, v1, 4, v255
	v_lshlrev_b32_e32 v1, 5, v16
	v_lshlrev_b32_e32 v21, 5, v17
	v_add_co_u32 v0, s12, s2, v0
	s_wait_alu 0xfffe
	v_fma_f64 v[44:45], v[90:91], s[10:11], v[76:77]
	v_fma_f64 v[40:41], v[90:91], s[0:1], v[76:77]
	;; [unrolled: 1-line block ×12, first 2 shown]
	ds_store_b128 v25, v[2:5]
	ds_store_b128 v25, v[40:43] offset:128
	scratch_store_b32 off, v25, off offset:212 ; 4-byte Folded Spill
	ds_store_b128 v25, v[44:47] offset:256
	ds_store_b128 v23, v[6:9]
	ds_store_b128 v23, v[52:55] offset:128
	scratch_store_b32 off, v23, off offset:208 ; 4-byte Folded Spill
	ds_store_b128 v23, v[64:67] offset:256
	;; [unrolled: 4-line block ×3, first 2 shown]
	global_wb scope:SCOPE_SE
	s_wait_storecnt_dscnt 0x0
	s_barrier_signal -1
	s_barrier_wait -1
	global_inv scope:SCOPE_SE
	s_clause 0x1
	global_load_b128 v[72:75], v1, s[2:3] offset:368
	global_load_b128 v[84:87], v1, s[2:3] offset:352
	s_wait_alu 0xf1ff
	v_add_co_ci_u32_e64 v1, null, s3, 0, s12
	s_clause 0x3
	global_load_b128 v[80:83], v21, s[2:3] offset:352
	global_load_b128 v[76:79], v21, s[2:3] offset:368
	global_load_b128 v[92:95], v[0:1], off offset:352
	global_load_b128 v[88:91], v[0:1], off offset:368
	ds_load_b128 v[0:3], v15 offset:4224
	ds_load_b128 v[4:7], v15 offset:8448
	;; [unrolled: 1-line block ×7, first 2 shown]
	s_wait_loadcnt_dscnt 0x505
	v_mul_f64_e32 v[68:69], v[6:7], v[74:75]
	s_wait_loadcnt 0x4
	v_mul_f64_e32 v[12:13], v[2:3], v[86:87]
	v_mul_f64_e32 v[70:71], v[0:1], v[86:87]
	;; [unrolled: 1-line block ×3, first 2 shown]
	s_wait_loadcnt_dscnt 0x304
	v_mul_f64_e32 v[98:99], v[10:11], v[82:83]
	s_wait_loadcnt_dscnt 0x203
	v_mul_f64_e32 v[100:101], v[42:43], v[78:79]
	v_mul_f64_e32 v[102:103], v[8:9], v[82:83]
	;; [unrolled: 1-line block ×3, first 2 shown]
	s_wait_loadcnt_dscnt 0x102
	v_mul_f64_e32 v[106:107], v[46:47], v[94:95]
	s_wait_loadcnt_dscnt 0x1
	v_mul_f64_e32 v[108:109], v[54:55], v[90:91]
	v_mul_f64_e32 v[110:111], v[44:45], v[94:95]
	;; [unrolled: 1-line block ×3, first 2 shown]
	v_fma_f64 v[68:69], v[4:5], v[72:73], -v[68:69]
	v_fma_f64 v[12:13], v[0:1], v[84:85], -v[12:13]
	v_fma_f64 v[70:71], v[2:3], v[84:85], v[70:71]
	v_fma_f64 v[96:97], v[6:7], v[72:73], v[96:97]
	v_fma_f64 v[8:9], v[8:9], v[80:81], -v[98:99]
	v_fma_f64 v[40:41], v[40:41], v[76:77], -v[100:101]
	v_fma_f64 v[10:11], v[10:11], v[80:81], v[102:103]
	v_fma_f64 v[42:43], v[42:43], v[76:77], v[104:105]
	;; [unrolled: 4-line block ×3, first 2 shown]
	ds_load_b128 v[0:3], v15
	ds_load_b128 v[4:7], v15 offset:1408
	global_wb scope:SCOPE_SE
	s_wait_dscnt 0x0
	s_barrier_signal -1
	s_barrier_wait -1
	global_inv scope:SCOPE_SE
	v_add_f64_e32 v[52:53], v[12:13], v[68:69]
	v_add_f64_e32 v[110:111], v[0:1], v[12:13]
	;; [unrolled: 1-line block ×3, first 2 shown]
	v_add_f64_e64 v[112:113], v[70:71], -v[96:97]
	v_add_f64_e32 v[102:103], v[8:9], v[40:41]
	v_add_f64_e32 v[70:71], v[2:3], v[70:71]
	;; [unrolled: 1-line block ×9, first 2 shown]
	v_add_f64_e64 v[12:13], v[12:13], -v[68:69]
	v_add_f64_e64 v[10:11], v[10:11], -v[42:43]
	;; [unrolled: 1-line block ×5, first 2 shown]
	v_fma_f64 v[0:1], v[52:53], -0.5, v[0:1]
	v_add_f64_e32 v[124:125], v[110:111], v[68:69]
	v_fma_f64 v[2:3], v[54:55], -0.5, v[2:3]
	v_fma_f64 v[4:5], v[102:103], -0.5, v[4:5]
	v_add_f64_e32 v[126:127], v[70:71], v[96:97]
	v_fma_f64 v[6:7], v[104:105], -0.5, v[6:7]
	v_add_f64_e32 v[52:53], v[114:115], v[40:41]
	;; [unrolled: 2-line block ×4, first 2 shown]
	v_add_f64_e32 v[110:111], v[120:121], v[100:101]
                                        ; implicit-def: $vgpr100_vgpr101
	v_fma_f64 v[40:41], v[112:113], s[0:1], v[0:1]
	v_fma_f64 v[64:65], v[112:113], s[10:11], v[0:1]
	;; [unrolled: 1-line block ×12, first 2 shown]
	v_and_b32_e32 v0, 0xffff, v18
	v_and_b32_e32 v1, 0xffff, v19
	v_mad_u16 v2, 0x48, v20, v24
	v_cmp_gt_u16_e64 s0, 0x48, v14
	s_delay_alu instid0(VALU_DEP_4) | instskip(NEXT) | instid1(VALU_DEP_4)
	v_mul_u32_u24_e32 v0, 0x48, v0
	v_mul_u32_u24_e32 v1, 0x48, v1
	s_delay_alu instid0(VALU_DEP_4) | instskip(NEXT) | instid1(VALU_DEP_3)
	v_and_b32_e32 v2, 0xffff, v2
	v_add_nc_u32_e32 v0, v0, v16
	s_delay_alu instid0(VALU_DEP_3) | instskip(NEXT) | instid1(VALU_DEP_2)
	v_add_nc_u32_e32 v1, v1, v17
	v_lshl_add_u32 v3, v0, 4, v255
	s_delay_alu instid0(VALU_DEP_2)
	v_lshl_add_u32 v1, v1, 4, v255
	v_lshl_add_u32 v0, v2, 4, v255
	ds_store_b128 v3, v[124:127]
	ds_store_b128 v3, v[40:43] offset:384
	scratch_store_b32 off, v3, off offset:204 ; 4-byte Folded Spill
	ds_store_b128 v3, v[64:67] offset:768
	ds_store_b128 v1, v[52:55]
	ds_store_b128 v1, v[104:107] offset:384
	scratch_store_b32 off, v1, off offset:196 ; 4-byte Folded Spill
	ds_store_b128 v1, v[116:119] offset:768
	;; [unrolled: 4-line block ×3, first 2 shown]
	global_wb scope:SCOPE_SE
	s_wait_storecnt_dscnt 0x0
	s_barrier_signal -1
	s_barrier_wait -1
	global_inv scope:SCOPE_SE
	s_and_saveexec_b32 s1, s0
	s_cbranch_execz .LBB0_17
; %bb.16:
	ds_load_b128 v[124:127], v15
	ds_load_b128 v[40:43], v15 offset:1152
	ds_load_b128 v[64:67], v15 offset:2304
	;; [unrolled: 1-line block ×10, first 2 shown]
.LBB0_17:
	s_wait_alu 0xfffe
	s_or_b32 exec_lo, exec_lo, s1
	v_add_nc_u32_e32 v0, 0xffffffb8, v14
	s_mov_b32 s14, 0xf8bb580b
	s_mov_b32 s15, 0xbfe14ced
	;; [unrolled: 1-line block ×4, first 2 shown]
	v_cndmask_b32_e64 v0, v0, v14, s0
	s_mov_b32 s11, 0x3feaeb8c
	s_mov_b32 s13, 0xbfed1bb4
	;; [unrolled: 1-line block ×4, first 2 shown]
	v_mul_i32_i24_e32 v1, 0xa0, v0
	v_mul_hi_i32_i24_e32 v2, 0xa0, v0
	s_mov_b32 s18, 0x640f44db
	s_mov_b32 s19, 0xbfc2375f
	;; [unrolled: 1-line block ×3, first 2 shown]
	v_add_co_u32 v0, s1, s2, v1
	s_wait_alu 0xf1ff
	v_add_co_ci_u32_e64 v1, s1, s3, v2, s1
	s_mov_b32 s2, 0xd9c712b6
	s_mov_b32 s3, 0x3fda9628
	;; [unrolled: 1-line block ×3, first 2 shown]
	s_clause 0x1
	global_load_b128 v[68:71], v[0:1], off offset:1120
	global_load_b128 v[96:99], v[0:1], off offset:1136
	s_mov_b32 s22, 0x7f775887
	s_mov_b32 s23, 0xbfe4f49e
	;; [unrolled: 1-line block ×11, first 2 shown]
	s_wait_alu 0xfffe
	s_mov_b32 s30, s14
	s_mov_b32 s39, 0x3fed1bb4
	;; [unrolled: 1-line block ×3, first 2 shown]
	s_wait_loadcnt_dscnt 0x109
	v_mul_f64_e32 v[2:3], v[42:43], v[70:71]
	s_delay_alu instid0(VALU_DEP_1) | instskip(SKIP_1) | instid1(VALU_DEP_1)
	v_fma_f64 v[171:172], v[40:41], v[68:69], -v[2:3]
	v_mul_f64_e32 v[2:3], v[40:41], v[70:71]
	v_fma_f64 v[173:174], v[42:43], v[68:69], v[2:3]
	s_clause 0x1
	global_load_b128 v[40:43], v[0:1], off offset:1264
	global_load_b128 v[44:47], v[0:1], off offset:1248
	s_wait_loadcnt_dscnt 0x100
	v_mul_f64_e32 v[2:3], v[100:101], v[42:43]
	s_delay_alu instid0(VALU_DEP_1) | instskip(SKIP_1) | instid1(VALU_DEP_2)
	v_fma_f64 v[18:19], v[102:103], v[40:41], v[2:3]
	v_mul_f64_e32 v[2:3], v[102:103], v[42:43]
	v_add_f64_e64 v[237:238], v[173:174], -v[18:19]
	s_delay_alu instid0(VALU_DEP_2) | instskip(SKIP_1) | instid1(VALU_DEP_3)
	v_fma_f64 v[20:21], v[100:101], v[40:41], -v[2:3]
	v_mul_f64_e32 v[2:3], v[66:67], v[98:99]
	v_mul_f64_e32 v[223:224], s[14:15], v[237:238]
	s_delay_alu instid0(VALU_DEP_3) | instskip(NEXT) | instid1(VALU_DEP_3)
	v_add_f64_e32 v[231:232], v[171:172], v[20:21]
	v_fma_f64 v[136:137], v[64:65], v[96:97], -v[2:3]
	v_mul_f64_e32 v[2:3], v[64:65], v[98:99]
	v_add_f64_e64 v[4:5], v[171:172], -v[20:21]
	s_delay_alu instid0(VALU_DEP_2) | instskip(SKIP_2) | instid1(VALU_DEP_1)
	v_fma_f64 v[138:139], v[66:67], v[96:97], v[2:3]
	s_wait_loadcnt 0x0
	v_mul_f64_e32 v[2:3], v[48:49], v[46:47]
	v_fma_f64 v[132:133], v[50:51], v[44:45], v[2:3]
	v_mul_f64_e32 v[2:3], v[50:51], v[46:47]
	s_delay_alu instid0(VALU_DEP_2) | instskip(NEXT) | instid1(VALU_DEP_2)
	v_add_f64_e64 v[175:176], v[138:139], -v[132:133]
	v_fma_f64 v[134:135], v[48:49], v[44:45], -v[2:3]
	s_clause 0x1
	global_load_b128 v[48:51], v[0:1], off offset:1152
	global_load_b128 v[100:103], v[0:1], off offset:1168
	v_add_f64_e32 v[177:178], v[138:139], v[132:133]
	v_mul_f64_e32 v[22:23], s[12:13], v[175:176]
	v_add_f64_e32 v[167:168], v[136:137], v[134:135]
	v_add_f64_e64 v[185:186], v[136:137], -v[134:135]
	v_mul_f64_e32 v[219:220], s[34:35], v[175:176]
	v_mul_f64_e32 v[233:234], s[26:27], v[175:176]
	s_delay_alu instid0(VALU_DEP_3) | instskip(SKIP_2) | instid1(VALU_DEP_3)
	v_mul_f64_e32 v[179:180], s[12:13], v[185:186]
	v_mul_f64_e32 v[225:226], s[34:35], v[185:186]
	;; [unrolled: 1-line block ×3, first 2 shown]
	v_fma_f64 v[10:11], v[177:178], s[2:3], -v[179:180]
	s_delay_alu instid0(VALU_DEP_2) | instskip(SKIP_2) | instid1(VALU_DEP_1)
	v_fma_f64 v[156:157], v[177:178], s[24:25], -v[243:244]
	s_wait_loadcnt 0x1
	v_mul_f64_e32 v[2:3], v[54:55], v[50:51]
	v_fma_f64 v[140:141], v[52:53], v[48:49], -v[2:3]
	v_mul_f64_e32 v[2:3], v[52:53], v[50:51]
	s_delay_alu instid0(VALU_DEP_1)
	v_fma_f64 v[142:143], v[54:55], v[48:49], v[2:3]
	s_clause 0x1
	global_load_b128 v[52:55], v[0:1], off offset:1232
	global_load_b128 v[64:67], v[0:1], off offset:1216
	s_wait_loadcnt 0x1
	v_mul_f64_e32 v[2:3], v[120:121], v[54:55]
	s_delay_alu instid0(VALU_DEP_1) | instskip(SKIP_1) | instid1(VALU_DEP_2)
	v_fma_f64 v[144:145], v[122:123], v[52:53], v[2:3]
	v_mul_f64_e32 v[2:3], v[122:123], v[54:55]
	v_add_f64_e64 v[195:196], v[142:143], -v[144:145]
	s_delay_alu instid0(VALU_DEP_2)
	v_fma_f64 v[146:147], v[120:121], v[52:53], -v[2:3]
	v_mul_f64_e32 v[2:3], v[106:107], v[102:103]
	v_add_f64_e32 v[187:188], v[142:143], v[144:145]
	v_fma_f64 v[120:121], v[167:168], s[24:25], v[233:234]
	v_mul_f64_e32 v[183:184], s[20:21], v[195:196]
	v_add_f64_e32 v[181:182], v[140:141], v[146:147]
	v_fma_f64 v[150:151], v[104:105], v[100:101], -v[2:3]
	v_mul_f64_e32 v[2:3], v[104:105], v[102:103]
	v_add_f64_e64 v[197:198], v[140:141], -v[146:147]
	v_mul_f64_e32 v[221:222], s[26:27], v[195:196]
	v_mul_f64_e32 v[245:246], s[38:39], v[195:196]
	s_delay_alu instid0(VALU_DEP_4)
	v_fma_f64 v[154:155], v[106:107], v[100:101], v[2:3]
	s_wait_loadcnt 0x0
	v_mul_f64_e32 v[2:3], v[114:115], v[66:67]
	v_mul_f64_e32 v[189:190], s[20:21], v[197:198]
	;; [unrolled: 1-line block ×4, first 2 shown]
	s_delay_alu instid0(VALU_DEP_4) | instskip(SKIP_1) | instid1(VALU_DEP_2)
	v_fma_f64 v[148:149], v[112:113], v[64:65], -v[2:3]
	v_mul_f64_e32 v[2:3], v[112:113], v[66:67]
	v_add_f64_e32 v[191:192], v[150:151], v[148:149]
	s_delay_alu instid0(VALU_DEP_2)
	v_fma_f64 v[152:153], v[114:115], v[64:65], v[2:3]
	s_clause 0x1
	global_load_b128 v[104:107], v[0:1], off offset:1184
	global_load_b128 v[112:115], v[0:1], off offset:1200
	v_fma_f64 v[2:3], v[167:168], s[2:3], v[22:23]
	v_add_f64_e64 v[213:214], v[150:151], -v[148:149]
	v_add_f64_e64 v[207:208], v[154:155], -v[152:153]
	v_add_f64_e32 v[203:204], v[154:155], v[152:153]
	s_delay_alu instid0(VALU_DEP_3)
	v_mul_f64_e32 v[205:206], s[34:35], v[213:214]
	v_mul_f64_e32 v[239:240], s[36:37], v[213:214]
	;; [unrolled: 1-line block ×6, first 2 shown]
	s_wait_loadcnt 0x1
	v_mul_f64_e32 v[0:1], v[118:119], v[106:107]
	s_delay_alu instid0(VALU_DEP_1) | instskip(SKIP_2) | instid1(VALU_DEP_2)
	v_fma_f64 v[159:160], v[116:117], v[104:105], -v[0:1]
	v_mul_f64_e32 v[0:1], v[116:117], v[106:107]
	v_fma_f64 v[116:117], v[177:178], s[22:23], -v[225:226]
	v_fma_f64 v[163:164], v[118:119], v[104:105], v[0:1]
	s_wait_loadcnt 0x0
	v_mul_f64_e32 v[0:1], v[110:111], v[114:115]
	s_delay_alu instid0(VALU_DEP_1) | instskip(SKIP_1) | instid1(VALU_DEP_2)
	v_fma_f64 v[161:162], v[108:109], v[112:113], -v[0:1]
	v_mul_f64_e32 v[0:1], v[108:109], v[114:115]
	v_add_f64_e32 v[199:200], v[159:160], v[161:162]
	s_delay_alu instid0(VALU_DEP_2) | instskip(SKIP_2) | instid1(VALU_DEP_3)
	v_fma_f64 v[165:166], v[110:111], v[112:113], v[0:1]
	v_fma_f64 v[0:1], v[231:232], s[10:11], v[223:224]
	v_add_f64_e64 v[217:218], v[159:160], -v[161:162]
	v_add_f64_e64 v[215:216], v[163:164], -v[165:166]
	s_delay_alu instid0(VALU_DEP_3) | instskip(SKIP_1) | instid1(VALU_DEP_4)
	v_add_f64_e32 v[0:1], v[124:125], v[0:1]
	v_add_f64_e32 v[209:210], v[163:164], v[165:166]
	v_mul_f64_e32 v[211:212], s[28:29], v[217:218]
	v_mul_f64_e32 v[241:242], s[30:31], v[217:218]
	v_mul_f64_e32 v[201:202], s[28:29], v[215:216]
	v_add_f64_e32 v[6:7], v[2:3], v[0:1]
	v_add_f64_e32 v[2:3], v[173:174], v[18:19]
	v_mul_f64_e32 v[0:1], s[14:15], v[4:5]
	v_mul_f64_e32 v[229:230], s[30:31], v[215:216]
	;; [unrolled: 1-line block ×3, first 2 shown]
	s_delay_alu instid0(VALU_DEP_3) | instskip(NEXT) | instid1(VALU_DEP_1)
	v_fma_f64 v[8:9], v[2:3], s[10:11], -v[0:1]
	v_add_f64_e32 v[8:9], v[126:127], v[8:9]
	s_delay_alu instid0(VALU_DEP_1) | instskip(SKIP_1) | instid1(VALU_DEP_1)
	v_add_f64_e32 v[8:9], v[10:11], v[8:9]
	v_fma_f64 v[10:11], v[181:182], s[18:19], v[183:184]
	v_add_f64_e32 v[6:7], v[10:11], v[6:7]
	v_fma_f64 v[10:11], v[187:188], s[18:19], -v[189:190]
	s_delay_alu instid0(VALU_DEP_1) | instskip(SKIP_1) | instid1(VALU_DEP_1)
	v_add_f64_e32 v[8:9], v[10:11], v[8:9]
	v_fma_f64 v[10:11], v[191:192], s[22:23], v[193:194]
	v_add_f64_e32 v[6:7], v[10:11], v[6:7]
	v_fma_f64 v[10:11], v[203:204], s[22:23], -v[205:206]
	;; [unrolled: 5-line block ×3, first 2 shown]
	v_fma_f64 v[10:11], v[167:168], s[22:23], v[219:220]
	s_delay_alu instid0(VALU_DEP_2) | instskip(SKIP_1) | instid1(VALU_DEP_1)
	v_add_f64_e32 v[110:111], v[6:7], v[8:9]
	v_mul_f64_e32 v[6:7], s[12:13], v[237:238]
	v_fma_f64 v[8:9], v[231:232], s[2:3], v[6:7]
	s_delay_alu instid0(VALU_DEP_1) | instskip(NEXT) | instid1(VALU_DEP_1)
	v_add_f64_e32 v[8:9], v[124:125], v[8:9]
	v_add_f64_e32 v[10:11], v[10:11], v[8:9]
	v_mul_f64_e32 v[8:9], s[12:13], v[4:5]
	s_delay_alu instid0(VALU_DEP_1) | instskip(NEXT) | instid1(VALU_DEP_1)
	v_fma_f64 v[12:13], v[2:3], s[2:3], -v[8:9]
	v_add_f64_e32 v[12:13], v[126:127], v[12:13]
	s_delay_alu instid0(VALU_DEP_1) | instskip(SKIP_1) | instid1(VALU_DEP_1)
	v_add_f64_e32 v[12:13], v[116:117], v[12:13]
	v_fma_f64 v[116:117], v[181:182], s[24:25], v[221:222]
	v_add_f64_e32 v[10:11], v[116:117], v[10:11]
	v_fma_f64 v[116:117], v[187:188], s[24:25], -v[235:236]
	s_delay_alu instid0(VALU_DEP_1) | instskip(SKIP_1) | instid1(VALU_DEP_1)
	v_add_f64_e32 v[12:13], v[116:117], v[12:13]
	v_fma_f64 v[116:117], v[191:192], s[18:19], v[227:228]
	v_add_f64_e32 v[10:11], v[116:117], v[10:11]
	v_fma_f64 v[116:117], v[203:204], s[18:19], -v[239:240]
	;; [unrolled: 5-line block ×3, first 2 shown]
	s_delay_alu instid0(VALU_DEP_1) | instskip(SKIP_1) | instid1(VALU_DEP_1)
	v_add_f64_e32 v[118:119], v[10:11], v[12:13]
	v_mul_f64_e32 v[10:11], s[20:21], v[237:238]
	v_fma_f64 v[12:13], v[231:232], s[18:19], v[10:11]
	s_delay_alu instid0(VALU_DEP_1) | instskip(NEXT) | instid1(VALU_DEP_1)
	v_add_f64_e32 v[12:13], v[124:125], v[12:13]
	v_add_f64_e32 v[120:121], v[120:121], v[12:13]
	v_mul_f64_e32 v[12:13], s[20:21], v[4:5]
	s_delay_alu instid0(VALU_DEP_1) | instskip(NEXT) | instid1(VALU_DEP_1)
	v_fma_f64 v[122:123], v[2:3], s[18:19], -v[12:13]
	v_add_f64_e32 v[122:123], v[126:127], v[122:123]
	s_delay_alu instid0(VALU_DEP_1) | instskip(SKIP_1) | instid1(VALU_DEP_1)
	v_add_f64_e32 v[122:123], v[156:157], v[122:123]
	v_fma_f64 v[156:157], v[181:182], s[2:3], v[245:246]
	v_add_f64_e32 v[120:121], v[156:157], v[120:121]
	v_fma_f64 v[156:157], v[187:188], s[2:3], -v[251:252]
	s_delay_alu instid0(VALU_DEP_1) | instskip(SKIP_1) | instid1(VALU_DEP_1)
	v_add_f64_e32 v[122:123], v[156:157], v[122:123]
	v_fma_f64 v[156:157], v[191:192], s[10:11], v[249:250]
	v_add_f64_e32 v[120:121], v[156:157], v[120:121]
	v_fma_f64 v[156:157], v[203:204], s[10:11], -v[253:254]
	s_delay_alu instid0(VALU_DEP_1) | instskip(SKIP_1) | instid1(VALU_DEP_1)
	v_add_f64_e32 v[122:123], v[156:157], v[122:123]
	v_fma_f64 v[156:157], v[199:200], s[22:23], v[247:248]
	v_add_f64_e32 v[120:121], v[156:157], v[120:121]
	v_mul_f64_e32 v[156:157], s[34:35], v[217:218]
	s_delay_alu instid0(VALU_DEP_1) | instskip(NEXT) | instid1(VALU_DEP_1)
	v_fma_f64 v[16:17], v[209:210], s[22:23], -v[156:157]
	v_add_f64_e32 v[122:123], v[16:17], v[122:123]
	s_and_saveexec_b32 s1, s0
	s_cbranch_execz .LBB0_19
; %bb.18:
	v_mul_f64_e32 v[16:17], s[24:25], v[2:3]
	s_clause 0x2
	scratch_store_b64 off, v[18:19], off offset:220
	scratch_store_b64 off, v[20:21], off offset:228
	;; [unrolled: 1-line block ×3, first 2 shown]
	v_mul_f64_e32 v[20:21], s[22:23], v[2:3]
	s_mov_b32 s41, 0x3fe82f19
	s_mov_b32 s40, s34
	v_mul_f64_e32 v[26:27], s[10:11], v[231:232]
	v_mul_f64_e32 v[128:129], s[18:19], v[209:210]
	;; [unrolled: 1-line block ×3, first 2 shown]
	v_fma_f64 v[18:19], v[4:5], s[26:27], v[16:17]
	v_fma_f64 v[16:17], v[4:5], s[28:29], v[16:17]
	;; [unrolled: 1-line block ×4, first 2 shown]
	v_mul_f64_e32 v[20:21], s[18:19], v[2:3]
	v_add_f64_e64 v[26:27], v[26:27], -v[223:224]
	v_add_f64_e32 v[223:224], v[126:127], v[173:174]
	v_add_f64_e32 v[18:19], v[126:127], v[18:19]
	;; [unrolled: 1-line block ×5, first 2 shown]
	v_mul_f64_e32 v[20:21], s[2:3], v[2:3]
	v_mul_f64_e32 v[2:3], s[10:11], v[2:3]
	v_add_f64_e32 v[26:27], v[124:125], v[26:27]
	s_delay_alu instid0(VALU_DEP_4) | instskip(NEXT) | instid1(VALU_DEP_4)
	v_add_f64_e32 v[12:13], v[126:127], v[12:13]
	v_add_f64_e32 v[8:9], v[8:9], v[20:21]
	v_mul_f64_e32 v[20:21], s[2:3], v[231:232]
	v_add_f64_e32 v[0:1], v[0:1], v[2:3]
	v_mul_f64_e32 v[2:3], s[28:29], v[237:238]
	s_delay_alu instid0(VALU_DEP_4) | instskip(NEXT) | instid1(VALU_DEP_4)
	v_add_f64_e32 v[8:9], v[126:127], v[8:9]
	v_add_f64_e64 v[6:7], v[20:21], -v[6:7]
	v_mul_f64_e32 v[20:21], s[18:19], v[231:232]
	v_add_f64_e32 v[169:170], v[126:127], v[0:1]
	s_delay_alu instid0(VALU_DEP_3) | instskip(NEXT) | instid1(VALU_DEP_3)
	v_add_f64_e32 v[28:29], v[124:125], v[6:7]
	v_add_f64_e64 v[10:11], v[20:21], -v[10:11]
	v_mul_f64_e32 v[20:21], s[34:35], v[237:238]
	v_fma_f64 v[237:238], v[231:232], s[24:25], v[2:3]
	v_fma_f64 v[2:3], v[231:232], s[24:25], -v[2:3]
	v_mul_f64_e32 v[6:7], s[30:31], v[175:176]
	v_add_f64_e32 v[30:31], v[124:125], v[10:11]
	v_fma_f64 v[24:25], v[231:232], s[22:23], -v[20:21]
	v_fma_f64 v[20:21], v[231:232], s[22:23], v[20:21]
	v_add_f64_e32 v[231:232], v[124:125], v[171:172]
	v_add_f64_e32 v[171:172], v[124:125], v[237:238]
	;; [unrolled: 1-line block ×3, first 2 shown]
	v_mul_f64_e32 v[4:5], s[10:11], v[177:178]
	v_mul_f64_e32 v[10:11], s[22:23], v[187:188]
	v_add_f64_e32 v[173:174], v[124:125], v[2:3]
	v_fma_f64 v[2:3], v[167:168], s[10:11], v[6:7]
	v_fma_f64 v[6:7], v[167:168], s[10:11], -v[6:7]
	v_add_f64_e32 v[24:25], v[124:125], v[24:25]
	v_add_f64_e32 v[20:21], v[124:125], v[20:21]
	v_fma_f64 v[0:1], v[185:186], s[14:15], v[4:5]
	v_fma_f64 v[4:5], v[185:186], s[30:31], v[4:5]
	v_add_f64_e32 v[2:3], v[2:3], v[171:172]
	v_add_f64_e32 v[6:7], v[6:7], v[173:174]
	s_delay_alu instid0(VALU_DEP_4) | instskip(SKIP_4) | instid1(VALU_DEP_4)
	v_add_f64_e32 v[0:1], v[0:1], v[18:19]
	v_fma_f64 v[18:19], v[197:198], s[40:41], v[10:11]
	v_add_f64_e32 v[4:5], v[4:5], v[16:17]
	v_fma_f64 v[10:11], v[197:198], s[34:35], v[10:11]
	v_fma_f64 v[16:17], v[199:200], s[18:19], -v[130:131]
	v_add_f64_e32 v[0:1], v[18:19], v[0:1]
	v_mul_f64_e32 v[18:19], s[34:35], v[195:196]
	s_delay_alu instid0(VALU_DEP_4) | instskip(NEXT) | instid1(VALU_DEP_2)
	v_add_f64_e32 v[4:5], v[10:11], v[4:5]
	v_fma_f64 v[124:125], v[181:182], s[22:23], v[18:19]
	v_fma_f64 v[10:11], v[181:182], s[22:23], -v[18:19]
	v_mul_f64_e32 v[18:19], s[24:25], v[187:188]
	s_delay_alu instid0(VALU_DEP_3) | instskip(SKIP_1) | instid1(VALU_DEP_4)
	v_add_f64_e32 v[2:3], v[124:125], v[2:3]
	v_mul_f64_e32 v[124:125], s[2:3], v[203:204]
	v_add_f64_e32 v[6:7], v[10:11], v[6:7]
	s_delay_alu instid0(VALU_DEP_4) | instskip(NEXT) | instid1(VALU_DEP_3)
	v_add_f64_e32 v[18:19], v[235:236], v[18:19]
	v_fma_f64 v[126:127], v[213:214], s[12:13], v[124:125]
	v_fma_f64 v[10:11], v[213:214], s[38:39], v[124:125]
	v_mul_f64_e32 v[124:125], s[24:25], v[181:182]
	s_delay_alu instid0(VALU_DEP_3) | instskip(SKIP_1) | instid1(VALU_DEP_4)
	v_add_f64_e32 v[0:1], v[126:127], v[0:1]
	v_mul_f64_e32 v[126:127], s[38:39], v[207:208]
	v_add_f64_e32 v[4:5], v[10:11], v[4:5]
	s_delay_alu instid0(VALU_DEP_4) | instskip(NEXT) | instid1(VALU_DEP_3)
	v_add_f64_e64 v[124:125], v[124:125], -v[221:222]
	v_fma_f64 v[10:11], v[191:192], s[2:3], -v[126:127]
	v_fma_f64 v[171:172], v[191:192], s[2:3], v[126:127]
	v_mul_f64_e32 v[126:127], s[18:19], v[203:204]
	s_delay_alu instid0(VALU_DEP_3) | instskip(SKIP_1) | instid1(VALU_DEP_4)
	v_add_f64_e32 v[10:11], v[10:11], v[6:7]
	v_fma_f64 v[6:7], v[217:218], s[20:21], v[128:129]
	v_add_f64_e32 v[171:172], v[171:172], v[2:3]
	v_fma_f64 v[2:3], v[217:218], s[36:37], v[128:129]
	v_add_f64_e32 v[126:127], v[239:240], v[126:127]
	v_mul_f64_e32 v[128:129], s[18:19], v[191:192]
	v_add_f64_e32 v[6:7], v[6:7], v[4:5]
	v_add_f64_e32 v[4:5], v[16:17], v[10:11]
	v_mul_f64_e32 v[10:11], s[22:23], v[177:178]
	v_mul_f64_e32 v[16:17], s[22:23], v[167:168]
	v_add_f64_e64 v[128:129], v[128:129], -v[227:228]
	v_add_f64_e32 v[2:3], v[2:3], v[0:1]
	v_fma_f64 v[0:1], v[199:200], s[18:19], v[130:131]
	v_add_f64_e32 v[10:11], v[225:226], v[10:11]
	v_add_f64_e64 v[16:17], v[16:17], -v[219:220]
	s_delay_alu instid0(VALU_DEP_3) | instskip(NEXT) | instid1(VALU_DEP_3)
	v_add_f64_e32 v[0:1], v[0:1], v[171:172]
	v_add_f64_e32 v[8:9], v[10:11], v[8:9]
	s_delay_alu instid0(VALU_DEP_3) | instskip(SKIP_1) | instid1(VALU_DEP_3)
	v_add_f64_e32 v[10:11], v[16:17], v[28:29]
	v_mul_f64_e32 v[16:17], s[10:11], v[209:210]
	v_add_f64_e32 v[8:9], v[18:19], v[8:9]
	s_delay_alu instid0(VALU_DEP_3) | instskip(NEXT) | instid1(VALU_DEP_3)
	v_add_f64_e32 v[10:11], v[124:125], v[10:11]
	v_add_f64_e32 v[16:17], v[241:242], v[16:17]
	v_mul_f64_e32 v[18:19], s[10:11], v[199:200]
	v_mul_f64_e32 v[124:125], s[2:3], v[181:182]
	v_add_f64_e32 v[8:9], v[126:127], v[8:9]
	v_add_f64_e32 v[28:29], v[128:129], v[10:11]
	v_mul_f64_e32 v[126:127], s[10:11], v[203:204]
	v_add_f64_e64 v[18:19], v[18:19], -v[229:230]
	v_add_f64_e64 v[124:125], v[124:125], -v[245:246]
	v_mul_f64_e32 v[128:129], s[10:11], v[191:192]
	v_add_f64_e32 v[10:11], v[16:17], v[8:9]
	v_mul_f64_e32 v[16:17], s[24:25], v[177:178]
	v_add_f64_e32 v[126:127], v[253:254], v[126:127]
	v_add_f64_e32 v[8:9], v[18:19], v[28:29]
	v_mul_f64_e32 v[18:19], s[24:25], v[167:168]
	v_mul_f64_e32 v[28:29], s[2:3], v[187:188]
	v_add_f64_e64 v[128:129], v[128:129], -v[249:250]
	v_add_f64_e32 v[16:17], v[243:244], v[16:17]
	s_delay_alu instid0(VALU_DEP_4) | instskip(NEXT) | instid1(VALU_DEP_4)
	v_add_f64_e64 v[18:19], v[18:19], -v[233:234]
	v_add_f64_e32 v[28:29], v[251:252], v[28:29]
	s_delay_alu instid0(VALU_DEP_3) | instskip(NEXT) | instid1(VALU_DEP_3)
	v_add_f64_e32 v[12:13], v[16:17], v[12:13]
	v_add_f64_e32 v[16:17], v[18:19], v[30:31]
	v_mul_f64_e32 v[18:19], s[22:23], v[209:210]
	s_delay_alu instid0(VALU_DEP_3) | instskip(SKIP_1) | instid1(VALU_DEP_4)
	v_add_f64_e32 v[12:13], v[28:29], v[12:13]
	v_mul_f64_e32 v[28:29], s[22:23], v[199:200]
	v_add_f64_e32 v[16:17], v[124:125], v[16:17]
	s_delay_alu instid0(VALU_DEP_4) | instskip(NEXT) | instid1(VALU_DEP_4)
	v_add_f64_e32 v[18:19], v[156:157], v[18:19]
	v_add_f64_e32 v[12:13], v[126:127], v[12:13]
	s_delay_alu instid0(VALU_DEP_4) | instskip(NEXT) | instid1(VALU_DEP_4)
	v_add_f64_e64 v[28:29], v[28:29], -v[247:248]
	v_add_f64_e32 v[16:17], v[128:129], v[16:17]
	s_delay_alu instid0(VALU_DEP_3) | instskip(SKIP_2) | instid1(VALU_DEP_4)
	v_add_f64_e32 v[126:127], v[18:19], v[12:13]
	v_mul_f64_e32 v[18:19], s[36:37], v[175:176]
	v_mul_f64_e32 v[12:13], s[18:19], v[177:178]
	v_add_f64_e32 v[124:125], v[28:29], v[16:17]
	v_mul_f64_e32 v[175:176], s[2:3], v[209:210]
	s_delay_alu instid0(VALU_DEP_4) | instskip(NEXT) | instid1(VALU_DEP_4)
	v_fma_f64 v[28:29], v[167:168], s[18:19], -v[18:19]
	v_fma_f64 v[16:17], v[185:186], s[36:37], v[12:13]
	v_fma_f64 v[12:13], v[185:186], s[20:21], v[12:13]
	s_delay_alu instid0(VALU_DEP_4)
	v_fma_f64 v[171:172], v[217:218], s[38:39], v[175:176]
	v_fma_f64 v[18:19], v[167:168], s[18:19], v[18:19]
	v_add_f64_e32 v[24:25], v[28:29], v[24:25]
	v_mul_f64_e32 v[28:29], s[10:11], v[187:188]
	v_add_f64_e32 v[16:17], v[16:17], v[237:238]
	v_add_f64_e32 v[12:13], v[12:13], v[22:23]
	;; [unrolled: 1-line block ×3, first 2 shown]
	v_mul_f64_e32 v[20:21], s[18:19], v[181:182]
	v_mul_f64_e32 v[22:23], s[22:23], v[203:204]
	v_fma_f64 v[30:31], v[197:198], s[14:15], v[28:29]
	s_delay_alu instid0(VALU_DEP_3) | instskip(NEXT) | instid1(VALU_DEP_3)
	v_add_f64_e64 v[20:21], v[20:21], -v[183:184]
	v_add_f64_e32 v[22:23], v[205:206], v[22:23]
	s_delay_alu instid0(VALU_DEP_3) | instskip(SKIP_1) | instid1(VALU_DEP_1)
	v_add_f64_e32 v[16:17], v[30:31], v[16:17]
	v_mul_f64_e32 v[30:31], s[14:15], v[195:196]
	v_fma_f64 v[128:129], v[181:182], s[10:11], -v[30:31]
	s_delay_alu instid0(VALU_DEP_1) | instskip(SKIP_1) | instid1(VALU_DEP_1)
	v_add_f64_e32 v[24:25], v[128:129], v[24:25]
	v_mul_f64_e32 v[128:129], s[24:25], v[203:204]
	v_fma_f64 v[130:131], v[213:214], s[28:29], v[128:129]
	s_delay_alu instid0(VALU_DEP_1) | instskip(SKIP_1) | instid1(VALU_DEP_2)
	v_add_f64_e32 v[16:17], v[130:131], v[16:17]
	v_mul_f64_e32 v[130:131], s[28:29], v[207:208]
	v_add_f64_e32 v[173:174], v[171:172], v[16:17]
	s_delay_alu instid0(VALU_DEP_2) | instskip(NEXT) | instid1(VALU_DEP_1)
	v_fma_f64 v[156:157], v[191:192], s[24:25], -v[130:131]
	v_add_f64_e32 v[24:25], v[156:157], v[24:25]
	v_mul_f64_e32 v[156:157], s[38:39], v[215:216]
	s_delay_alu instid0(VALU_DEP_1) | instskip(NEXT) | instid1(VALU_DEP_1)
	v_fma_f64 v[16:17], v[199:200], s[2:3], -v[156:157]
	v_add_f64_e32 v[171:172], v[16:17], v[24:25]
	v_fma_f64 v[16:17], v[197:198], s[30:31], v[28:29]
	v_fma_f64 v[24:25], v[213:214], s[26:27], v[128:129]
	;; [unrolled: 1-line block ×3, first 2 shown]
	s_delay_alu instid0(VALU_DEP_3) | instskip(SKIP_1) | instid1(VALU_DEP_2)
	v_add_f64_e32 v[12:13], v[16:17], v[12:13]
	v_fma_f64 v[16:17], v[181:182], s[10:11], v[30:31]
	v_add_f64_e32 v[12:13], v[24:25], v[12:13]
	s_delay_alu instid0(VALU_DEP_2) | instskip(SKIP_2) | instid1(VALU_DEP_4)
	v_add_f64_e32 v[16:17], v[16:17], v[18:19]
	v_fma_f64 v[18:19], v[191:192], s[24:25], v[130:131]
	v_mul_f64_e32 v[24:25], s[22:23], v[191:192]
	v_add_f64_e32 v[197:198], v[28:29], v[12:13]
	v_mul_f64_e32 v[12:13], s[2:3], v[177:178]
	s_delay_alu instid0(VALU_DEP_4) | instskip(SKIP_2) | instid1(VALU_DEP_4)
	v_add_f64_e32 v[16:17], v[18:19], v[16:17]
	v_fma_f64 v[18:19], v[199:200], s[2:3], v[156:157]
	v_add_f64_e64 v[24:25], v[24:25], -v[193:194]
	v_add_f64_e32 v[12:13], v[179:180], v[12:13]
	s_delay_alu instid0(VALU_DEP_3) | instskip(SKIP_4) | instid1(VALU_DEP_2)
	v_add_f64_e32 v[195:196], v[18:19], v[16:17]
	scratch_load_b64 v[18:19], off, off offset:236 th:TH_LOAD_LU ; 8-byte Folded Reload
	v_mul_f64_e32 v[16:17], s[2:3], v[167:168]
	v_add_f64_e32 v[12:13], v[12:13], v[169:170]
	s_wait_loadcnt 0x0
	v_add_f64_e64 v[16:17], v[16:17], -v[18:19]
	v_mul_f64_e32 v[18:19], s[18:19], v[187:188]
	s_delay_alu instid0(VALU_DEP_2) | instskip(NEXT) | instid1(VALU_DEP_2)
	v_add_f64_e32 v[16:17], v[16:17], v[26:27]
	v_add_f64_e32 v[18:19], v[189:190], v[18:19]
	v_mul_f64_e32 v[26:27], s[24:25], v[209:210]
	s_delay_alu instid0(VALU_DEP_3) | instskip(NEXT) | instid1(VALU_DEP_3)
	v_add_f64_e32 v[16:17], v[20:21], v[16:17]
	v_add_f64_e32 v[12:13], v[18:19], v[12:13]
	v_mul_f64_e32 v[18:19], s[24:25], v[199:200]
	s_delay_alu instid0(VALU_DEP_4) | instskip(NEXT) | instid1(VALU_DEP_4)
	v_add_f64_e32 v[26:27], v[211:212], v[26:27]
	v_add_f64_e32 v[16:17], v[24:25], v[16:17]
	s_delay_alu instid0(VALU_DEP_4) | instskip(NEXT) | instid1(VALU_DEP_4)
	v_add_f64_e32 v[12:13], v[22:23], v[12:13]
	v_add_f64_e64 v[18:19], v[18:19], -v[201:202]
	s_delay_alu instid0(VALU_DEP_2) | instskip(NEXT) | instid1(VALU_DEP_2)
	v_add_f64_e32 v[169:170], v[26:27], v[12:13]
	v_add_f64_e32 v[167:168], v[18:19], v[16:17]
	scratch_load_b64 v[18:19], off, off offset:220 th:TH_LOAD_LU ; 8-byte Folded Reload
	v_add_f64_e32 v[12:13], v[223:224], v[138:139]
	v_add_f64_e32 v[16:17], v[231:232], v[136:137]
	s_delay_alu instid0(VALU_DEP_2) | instskip(NEXT) | instid1(VALU_DEP_2)
	v_add_f64_e32 v[12:13], v[12:13], v[142:143]
	v_add_f64_e32 v[16:17], v[16:17], v[140:141]
	s_delay_alu instid0(VALU_DEP_2) | instskip(NEXT) | instid1(VALU_DEP_2)
	;; [unrolled: 3-line block ×7, first 2 shown]
	v_add_f64_e32 v[12:13], v[12:13], v[132:133]
	v_add_f64_e32 v[16:17], v[16:17], v[134:135]
	s_wait_loadcnt 0x0
	s_delay_alu instid0(VALU_DEP_2)
	v_add_f64_e32 v[132:133], v[12:13], v[18:19]
	scratch_load_b64 v[12:13], off, off offset:228 th:TH_LOAD_LU ; 8-byte Folded Reload
	s_wait_loadcnt 0x0
	v_add_f64_e32 v[130:131], v[16:17], v[12:13]
	v_lshl_add_u32 v12, v14, 4, v255
	ds_store_b128 v12, v[8:11] offset:2304
	ds_store_b128 v12, v[120:123] offset:9216
	;; [unrolled: 1-line block ×9, first 2 shown]
	ds_store_b128 v15, v[130:133]
	ds_store_b128 v12, v[108:111] offset:11520
.LBB0_19:
	s_wait_alu 0xfffe
	s_or_b32 exec_lo, exec_lo, s1
	global_wb scope:SCOPE_SE
	s_wait_storecnt_dscnt 0x0
	s_barrier_signal -1
	s_barrier_wait -1
	global_inv scope:SCOPE_SE
	scratch_load_b64 v[0:1], off, off       ; 8-byte Folded Reload
	s_add_nc_u64 s[2:3], s[16:17], 0x3180
	s_wait_loadcnt 0x0
	s_clause 0x7
	global_load_b128 v[0:3], v[0:1], off offset:12672
	global_load_b128 v[4:7], v158, s[2:3] offset:6336
	global_load_b128 v[8:11], v158, s[2:3] offset:1408
	;; [unrolled: 1-line block ×7, first 2 shown]
	ds_load_b128 v[144:147], v15
	ds_load_b128 v[148:151], v15 offset:6336
	ds_load_b128 v[152:155], v15 offset:1408
	;; [unrolled: 1-line block ×7, first 2 shown]
	s_wait_loadcnt_dscnt 0x707
	v_mul_f64_e32 v[12:13], v[146:147], v[2:3]
	v_mul_f64_e32 v[2:3], v[144:145], v[2:3]
	s_wait_loadcnt_dscnt 0x606
	v_mul_f64_e32 v[16:17], v[150:151], v[6:7]
	v_mul_f64_e32 v[6:7], v[148:149], v[6:7]
	s_wait_loadcnt_dscnt 0x505
	v_mul_f64_e32 v[18:19], v[154:155], v[10:11]
	v_mul_f64_e32 v[20:21], v[152:153], v[10:11]
	s_wait_loadcnt_dscnt 0x404
	v_mul_f64_e32 v[22:23], v[161:162], v[126:127]
	v_mul_f64_e32 v[24:25], v[159:160], v[126:127]
	s_wait_loadcnt_dscnt 0x303
	v_mul_f64_e32 v[26:27], v[165:166], v[130:131]
	v_mul_f64_e32 v[28:29], v[163:164], v[130:131]
	s_wait_loadcnt_dscnt 0x202
	v_mul_f64_e32 v[30:31], v[169:170], v[134:135]
	v_mul_f64_e32 v[130:131], v[167:168], v[134:135]
	s_wait_loadcnt_dscnt 0x101
	v_mul_f64_e32 v[134:135], v[173:174], v[138:139]
	v_mul_f64_e32 v[138:139], v[171:172], v[138:139]
	s_wait_loadcnt_dscnt 0x0
	v_mul_f64_e32 v[156:157], v[177:178], v[142:143]
	v_mul_f64_e32 v[179:180], v[175:176], v[142:143]
	v_fma_f64 v[10:11], v[144:145], v[0:1], -v[12:13]
	v_fma_f64 v[12:13], v[146:147], v[0:1], v[2:3]
	v_fma_f64 v[0:1], v[148:149], v[4:5], -v[16:17]
	v_fma_f64 v[2:3], v[150:151], v[4:5], v[6:7]
	;; [unrolled: 2-line block ×8, first 2 shown]
	ds_store_b128 v15, v[10:13]
	ds_store_b128 v15, v[4:7] offset:1408
	ds_store_b128 v15, v[0:3] offset:6336
	;; [unrolled: 1-line block ×7, first 2 shown]
	s_and_saveexec_b32 s1, vcc_lo
	s_cbranch_execz .LBB0_21
; %bb.20:
	s_wait_alu 0xfffe
	v_add_co_u32 v4, s2, s2, v158
	s_wait_alu 0xf1ff
	v_add_co_ci_u32_e64 v5, null, s3, 0, s2
	s_clause 0x1
	global_load_b128 v[0:3], v[4:5], off offset:5632
	global_load_b128 v[4:7], v[4:5], off offset:11968
	ds_load_b128 v[8:11], v15 offset:5632
	ds_load_b128 v[124:127], v15 offset:11968
	s_wait_loadcnt_dscnt 0x101
	v_mul_f64_e32 v[12:13], v[10:11], v[2:3]
	v_mul_f64_e32 v[2:3], v[8:9], v[2:3]
	s_wait_loadcnt_dscnt 0x0
	v_mul_f64_e32 v[16:17], v[126:127], v[6:7]
	v_mul_f64_e32 v[18:19], v[124:125], v[6:7]
	s_delay_alu instid0(VALU_DEP_4) | instskip(NEXT) | instid1(VALU_DEP_4)
	v_fma_f64 v[6:7], v[8:9], v[0:1], -v[12:13]
	v_fma_f64 v[8:9], v[10:11], v[0:1], v[2:3]
	s_delay_alu instid0(VALU_DEP_4) | instskip(NEXT) | instid1(VALU_DEP_4)
	v_fma_f64 v[0:1], v[124:125], v[4:5], -v[16:17]
	v_fma_f64 v[2:3], v[126:127], v[4:5], v[18:19]
	ds_store_b128 v15, v[6:9] offset:5632
	ds_store_b128 v15, v[0:3] offset:11968
.LBB0_21:
	s_wait_alu 0xfffe
	s_or_b32 exec_lo, exec_lo, s1
	global_wb scope:SCOPE_SE
	s_wait_dscnt 0x0
	s_barrier_signal -1
	s_barrier_wait -1
	global_inv scope:SCOPE_SE
	ds_load_b128 v[128:131], v15
	ds_load_b128 v[132:135], v15 offset:1408
	ds_load_b128 v[152:155], v15 offset:6336
	;; [unrolled: 1-line block ×7, first 2 shown]
	s_and_saveexec_b32 s1, vcc_lo
	s_cbranch_execz .LBB0_23
; %bb.22:
	v_lshl_add_u32 v0, v14, 4, v255
	ds_load_b128 v[120:123], v0 offset:5632
	ds_load_b128 v[116:119], v0 offset:11968
.LBB0_23:
	s_wait_alu 0xfffe
	s_or_b32 exec_lo, exec_lo, s1
	s_wait_dscnt 0x5
	v_add_f64_e64 v[0:1], v[128:129], -v[152:153]
	v_add_f64_e64 v[2:3], v[130:131], -v[154:155]
	v_lshl_add_u32 v12, v14, 5, v255
	global_wb scope:SCOPE_SE
	s_wait_dscnt 0x0
	s_barrier_signal -1
	s_barrier_wait -1
	global_inv scope:SCOPE_SE
	v_add_f64_e64 v[4:5], v[132:133], -v[148:149]
	v_add_f64_e64 v[6:7], v[134:135], -v[150:151]
	;; [unrolled: 1-line block ×8, first 2 shown]
	v_fma_f64 v[128:129], v[128:129], 2.0, -v[0:1]
	v_fma_f64 v[130:131], v[130:131], 2.0, -v[2:3]
	ds_store_b128 v12, v[128:131]
	ds_store_b128 v12, v[0:3] offset:16
	scratch_load_b32 v0, off, off offset:156 th:TH_LOAD_LU ; 4-byte Folded Reload
	v_fma_f64 v[132:133], v[132:133], 2.0, -v[4:5]
	v_fma_f64 v[134:135], v[134:135], 2.0, -v[6:7]
	;; [unrolled: 1-line block ×8, first 2 shown]
	s_wait_loadcnt 0x0
	ds_store_b128 v0, v[132:135]
	ds_store_b128 v0, v[4:7] offset:16
	scratch_load_b32 v0, off, off offset:148 th:TH_LOAD_LU ; 4-byte Folded Reload
	s_wait_loadcnt 0x0
	ds_store_b128 v0, v[136:139]
	ds_store_b128 v0, v[8:11] offset:16
	scratch_load_b32 v0, off, off offset:152 th:TH_LOAD_LU ; 4-byte Folded Reload
	s_wait_loadcnt 0x0
	ds_store_b128 v0, v[140:143]
	ds_store_b128 v0, v[144:147] offset:16
	s_and_saveexec_b32 s1, vcc_lo
	s_cbranch_execz .LBB0_25
; %bb.24:
	scratch_load_b32 v0, off, off offset:216 th:TH_LOAD_LU ; 4-byte Folded Reload
	s_wait_loadcnt 0x0
	ds_store_b128 v0, v[116:119]
	ds_store_b128 v0, v[124:127] offset:16
.LBB0_25:
	s_wait_alu 0xfffe
	s_or_b32 exec_lo, exec_lo, s1
	global_wb scope:SCOPE_SE
	s_wait_dscnt 0x0
	s_barrier_signal -1
	s_barrier_wait -1
	global_inv scope:SCOPE_SE
	ds_load_b128 v[120:123], v15
	ds_load_b128 v[128:131], v15 offset:1408
	ds_load_b128 v[144:147], v15 offset:6336
	;; [unrolled: 1-line block ×7, first 2 shown]
	s_and_saveexec_b32 s1, vcc_lo
	s_cbranch_execz .LBB0_27
; %bb.26:
	ds_load_b128 v[116:119], v15 offset:5632
	ds_load_b128 v[124:127], v15 offset:11968
.LBB0_27:
	s_wait_alu 0xfffe
	s_or_b32 exec_lo, exec_lo, s1
	s_wait_dscnt 0x0
	v_mul_f64_e32 v[12:13], v[34:35], v[150:151]
	v_mul_f64_e32 v[18:19], v[34:35], v[126:127]
	;; [unrolled: 1-line block ×3, first 2 shown]
	global_wb scope:SCOPE_SE
	s_barrier_signal -1
	s_barrier_wait -1
	global_inv scope:SCOPE_SE
	v_mul_f64_e32 v[0:1], v[34:35], v[146:147]
	v_mul_f64_e32 v[2:3], v[34:35], v[144:145]
	;; [unrolled: 1-line block ×7, first 2 shown]
	v_fma_f64 v[12:13], v[32:33], v[148:149], v[12:13]
	v_fma_f64 v[18:19], v[32:33], v[124:125], v[18:19]
	v_fma_f64 v[20:21], v[32:33], v[126:127], -v[20:21]
	v_fma_f64 v[0:1], v[32:33], v[144:145], v[0:1]
	v_fma_f64 v[2:3], v[32:33], v[146:147], -v[2:3]
	;; [unrolled: 2-line block ×4, first 2 shown]
	v_fma_f64 v[16:17], v[32:33], v[150:151], -v[16:17]
	v_add_f64_e64 v[124:125], v[136:137], -v[12:13]
	scratch_load_b32 v12, off, off offset:176 th:TH_LOAD_LU ; 4-byte Folded Reload
	v_add_f64_e64 v[32:33], v[116:117], -v[18:19]
	v_add_f64_e64 v[34:35], v[118:119], -v[20:21]
	;; [unrolled: 1-line block ×9, first 2 shown]
	v_fma_f64 v[136:137], v[136:137], 2.0, -v[124:125]
	v_fma_f64 v[116:117], v[116:117], 2.0, -v[32:33]
	v_fma_f64 v[118:119], v[118:119], 2.0, -v[34:35]
	v_fma_f64 v[120:121], v[120:121], 2.0, -v[0:1]
	v_fma_f64 v[122:123], v[122:123], 2.0, -v[2:3]
	v_fma_f64 v[128:129], v[128:129], 2.0, -v[4:5]
	v_fma_f64 v[130:131], v[130:131], 2.0, -v[6:7]
	v_fma_f64 v[132:133], v[132:133], 2.0, -v[8:9]
	v_fma_f64 v[134:135], v[134:135], 2.0, -v[10:11]
	v_fma_f64 v[138:139], v[138:139], 2.0, -v[126:127]
	s_wait_loadcnt 0x0
	ds_store_b128 v12, v[120:123]
	ds_store_b128 v12, v[0:3] offset:32
	scratch_load_b32 v0, off, off offset:168 th:TH_LOAD_LU ; 4-byte Folded Reload
	s_wait_loadcnt 0x0
	ds_store_b128 v0, v[128:131]
	ds_store_b128 v0, v[4:7] offset:32
	scratch_load_b32 v0, off, off offset:164 th:TH_LOAD_LU ; 4-byte Folded Reload
	;; [unrolled: 4-line block ×3, first 2 shown]
	s_wait_loadcnt 0x0
	ds_store_b128 v0, v[136:139]
	ds_store_b128 v0, v[124:127] offset:32
	s_and_saveexec_b32 s1, vcc_lo
	s_cbranch_execz .LBB0_29
; %bb.28:
	scratch_load_b32 v0, off, off offset:8  ; 4-byte Folded Reload
	v_and_b32_e32 v1, 1, v14
	s_wait_loadcnt 0x0
	s_delay_alu instid0(VALU_DEP_1) | instskip(NEXT) | instid1(VALU_DEP_1)
	v_and_or_b32 v0, 0x3fc, v0, v1
	v_lshl_add_u32 v0, v0, 4, v255
	ds_store_b128 v0, v[116:119]
	ds_store_b128 v0, v[32:35] offset:32
.LBB0_29:
	s_wait_alu 0xfffe
	s_or_b32 exec_lo, exec_lo, s1
	global_wb scope:SCOPE_SE
	s_wait_dscnt 0x0
	s_barrier_signal -1
	s_barrier_wait -1
	global_inv scope:SCOPE_SE
	ds_load_b128 v[124:127], v15
	ds_load_b128 v[128:131], v15 offset:1408
	ds_load_b128 v[140:143], v15 offset:6336
	;; [unrolled: 1-line block ×7, first 2 shown]
	s_and_saveexec_b32 s1, vcc_lo
	s_cbranch_execz .LBB0_31
; %bb.30:
	ds_load_b128 v[116:119], v15 offset:5632
	ds_load_b128 v[32:35], v15 offset:11968
.LBB0_31:
	s_wait_alu 0xfffe
	s_or_b32 exec_lo, exec_lo, s1
	s_wait_dscnt 0x0
	v_mul_f64_e32 v[12:13], v[38:39], v[146:147]
	v_mul_f64_e32 v[4:5], v[38:39], v[138:139]
	;; [unrolled: 1-line block ×5, first 2 shown]
	global_wb scope:SCOPE_SE
	s_barrier_signal -1
	s_barrier_wait -1
	global_inv scope:SCOPE_SE
	v_mul_f64_e32 v[0:1], v[38:39], v[142:143]
	v_mul_f64_e32 v[2:3], v[38:39], v[140:141]
	;; [unrolled: 1-line block ×5, first 2 shown]
	v_fma_f64 v[12:13], v[36:37], v[144:145], v[12:13]
	v_fma_f64 v[4:5], v[36:37], v[136:137], v[4:5]
	v_fma_f64 v[6:7], v[36:37], v[138:139], -v[6:7]
	v_fma_f64 v[0:1], v[36:37], v[140:141], v[0:1]
	v_fma_f64 v[2:3], v[36:37], v[142:143], -v[2:3]
	v_fma_f64 v[16:17], v[36:37], v[146:147], -v[16:17]
	v_fma_f64 v[8:9], v[36:37], v[148:149], v[8:9]
	v_fma_f64 v[10:11], v[36:37], v[150:151], -v[10:11]
	v_add_f64_e64 v[136:137], v[120:121], -v[12:13]
	v_fma_f64 v[12:13], v[36:37], v[32:33], v[18:19]
	v_add_f64_e64 v[4:5], v[128:129], -v[4:5]
	v_add_f64_e64 v[6:7], v[130:131], -v[6:7]
	v_add_f64_e64 v[0:1], v[124:125], -v[0:1]
	v_add_f64_e64 v[2:3], v[126:127], -v[2:3]
	v_add_f64_e64 v[138:139], v[122:123], -v[16:17]
	v_fma_f64 v[16:17], v[36:37], v[34:35], -v[20:21]
	v_add_f64_e64 v[8:9], v[132:133], -v[8:9]
	v_add_f64_e64 v[10:11], v[134:135], -v[10:11]
	v_fma_f64 v[120:121], v[120:121], 2.0, -v[136:137]
	v_add_f64_e64 v[32:33], v[116:117], -v[12:13]
	scratch_load_b32 v12, off, off offset:188 th:TH_LOAD_LU ; 4-byte Folded Reload
	v_fma_f64 v[36:37], v[124:125], 2.0, -v[0:1]
	v_fma_f64 v[38:39], v[126:127], 2.0, -v[2:3]
	;; [unrolled: 1-line block ×7, first 2 shown]
	v_add_f64_e64 v[34:35], v[118:119], -v[16:17]
	s_wait_loadcnt 0x0
	ds_store_b128 v12, v[36:39]
	ds_store_b128 v12, v[0:3] offset:64
	scratch_load_b32 v0, off, off offset:184 th:TH_LOAD_LU ; 4-byte Folded Reload
	s_wait_loadcnt 0x0
	ds_store_b128 v0, v[124:127]
	ds_store_b128 v0, v[4:7] offset:64
	scratch_load_b32 v0, off, off offset:180 th:TH_LOAD_LU ; 4-byte Folded Reload
	;; [unrolled: 4-line block ×3, first 2 shown]
	s_wait_loadcnt 0x0
	ds_store_b128 v0, v[120:123]
	ds_store_b128 v0, v[136:139] offset:64
	s_and_saveexec_b32 s1, vcc_lo
	s_cbranch_execz .LBB0_33
; %bb.32:
	scratch_load_b32 v4, off, off offset:8 th:TH_LOAD_LU ; 4-byte Folded Reload
	v_fma_f64 v[2:3], v[118:119], 2.0, -v[34:35]
	v_fma_f64 v[0:1], v[116:117], 2.0, -v[32:33]
	v_and_b32_e32 v5, 3, v14
	s_wait_loadcnt 0x0
	s_delay_alu instid0(VALU_DEP_1) | instskip(NEXT) | instid1(VALU_DEP_1)
	v_and_or_b32 v4, 0x3f8, v4, v5
	v_lshl_add_u32 v4, v4, 4, v255
	ds_store_b128 v4, v[0:3]
	ds_store_b128 v4, v[32:35] offset:64
.LBB0_33:
	s_wait_alu 0xfffe
	s_or_b32 exec_lo, exec_lo, s1
	global_wb scope:SCOPE_SE
	s_wait_dscnt 0x0
	s_barrier_signal -1
	s_barrier_wait -1
	global_inv scope:SCOPE_SE
	ds_load_b128 v[0:3], v15 offset:4224
	ds_load_b128 v[4:7], v15 offset:8448
	;; [unrolled: 1-line block ×7, first 2 shown]
	s_mov_b32 s2, 0xe8584caa
	s_mov_b32 s3, 0xbfebb67a
	;; [unrolled: 1-line block ×3, first 2 shown]
	s_wait_alu 0xfffe
	s_mov_b32 s10, s2
	s_wait_dscnt 0x6
	v_mul_f64_e32 v[12:13], v[62:63], v[2:3]
	s_wait_dscnt 0x5
	v_mul_f64_e32 v[16:17], v[58:59], v[6:7]
	v_mul_f64_e32 v[18:19], v[62:63], v[0:1]
	v_mul_f64_e32 v[20:21], v[58:59], v[4:5]
	s_wait_dscnt 0x4
	v_mul_f64_e32 v[22:23], v[62:63], v[10:11]
	s_wait_dscnt 0x3
	v_mul_f64_e32 v[24:25], v[58:59], v[38:39]
	v_mul_f64_e32 v[26:27], v[62:63], v[8:9]
	v_mul_f64_e32 v[28:29], v[58:59], v[36:37]
	;; [unrolled: 6-line block ×3, first 2 shown]
	v_fma_f64 v[12:13], v[60:61], v[0:1], v[12:13]
	v_fma_f64 v[16:17], v[56:57], v[4:5], v[16:17]
	v_fma_f64 v[18:19], v[60:61], v[2:3], -v[18:19]
	v_fma_f64 v[20:21], v[56:57], v[6:7], -v[20:21]
	v_fma_f64 v[8:9], v[60:61], v[8:9], v[22:23]
	v_fma_f64 v[22:23], v[56:57], v[36:37], v[24:25]
	v_fma_f64 v[10:11], v[60:61], v[10:11], -v[26:27]
	v_fma_f64 v[24:25], v[56:57], v[38:39], -v[28:29]
	;; [unrolled: 4-line block ×3, first 2 shown]
	ds_load_b128 v[0:3], v15
	ds_load_b128 v[4:7], v15 offset:1408
	global_wb scope:SCOPE_SE
	s_wait_dscnt 0x0
	s_barrier_signal -1
	s_barrier_wait -1
	global_inv scope:SCOPE_SE
	v_add_f64_e32 v[118:119], v[0:1], v[12:13]
	v_add_f64_e32 v[38:39], v[12:13], v[16:17]
	v_add_f64_e64 v[12:13], v[12:13], -v[16:17]
	v_add_f64_e32 v[56:57], v[18:19], v[20:21]
	v_add_f64_e64 v[120:121], v[18:19], -v[20:21]
	v_add_f64_e32 v[58:59], v[8:9], v[22:23]
	v_add_f64_e32 v[128:129], v[6:7], v[10:11]
	v_add_f64_e32 v[60:61], v[10:11], v[24:25]
	v_add_f64_e64 v[136:137], v[10:11], -v[24:25]
	v_add_f64_e32 v[18:19], v[2:3], v[18:19]
	v_add_f64_e32 v[132:133], v[126:127], v[30:31]
	;; [unrolled: 4-line block ×3, first 2 shown]
	v_add_f64_e64 v[140:141], v[8:9], -v[22:23]
	v_add_f64_e32 v[130:131], v[124:125], v[26:27]
	v_add_f64_e64 v[26:27], v[26:27], -v[28:29]
	v_fma_f64 v[38:39], v[38:39], -0.5, v[0:1]
	v_add_f64_e32 v[0:1], v[118:119], v[16:17]
	v_fma_f64 v[134:135], v[56:57], -0.5, v[2:3]
	v_fma_f64 v[138:139], v[58:59], -0.5, v[4:5]
	v_fma_f64 v[142:143], v[60:61], -0.5, v[6:7]
	v_add_f64_e32 v[6:7], v[128:129], v[24:25]
	v_add_f64_e32 v[2:3], v[18:19], v[20:21]
	;; [unrolled: 1-line block ×3, first 2 shown]
	v_fma_f64 v[126:127], v[116:117], -0.5, v[126:127]
	v_add_f64_e32 v[4:5], v[122:123], v[22:23]
	v_fma_f64 v[124:125], v[62:63], -0.5, v[124:125]
	v_add_f64_e32 v[8:9], v[130:131], v[28:29]
	v_fma_f64 v[36:37], v[120:121], s[2:3], v[38:39]
	s_wait_alu 0xfffe
	v_fma_f64 v[56:57], v[120:121], s[10:11], v[38:39]
	v_fma_f64 v[38:39], v[12:13], s[10:11], v[134:135]
	;; [unrolled: 1-line block ×3, first 2 shown]
	scratch_load_b32 v12, off, off offset:212 th:TH_LOAD_LU ; 4-byte Folded Reload
	v_fma_f64 v[60:61], v[136:137], s[2:3], v[138:139]
	v_fma_f64 v[62:63], v[140:141], s[10:11], v[142:143]
	;; [unrolled: 1-line block ×4, first 2 shown]
	s_wait_loadcnt 0x0
	ds_store_b128 v12, v[0:3]
	ds_store_b128 v12, v[36:39] offset:128
	ds_store_b128 v12, v[56:59] offset:256
	scratch_load_b32 v0, off, off offset:208 th:TH_LOAD_LU ; 4-byte Folded Reload
	v_fma_f64 v[120:121], v[30:31], s[2:3], v[124:125]
	v_fma_f64 v[122:123], v[26:27], s[10:11], v[126:127]
	;; [unrolled: 1-line block ×4, first 2 shown]
	s_wait_loadcnt 0x0
	ds_store_b128 v0, v[4:7]
	ds_store_b128 v0, v[60:63] offset:128
	ds_store_b128 v0, v[116:119] offset:256
	scratch_load_b32 v0, off, off offset:200 th:TH_LOAD_LU ; 4-byte Folded Reload
	s_wait_loadcnt 0x0
	ds_store_b128 v0, v[8:11]
	ds_store_b128 v0, v[120:123] offset:128
	ds_store_b128 v0, v[124:127] offset:256
	global_wb scope:SCOPE_SE
	s_wait_dscnt 0x0
	s_barrier_signal -1
	s_barrier_wait -1
	global_inv scope:SCOPE_SE
	ds_load_b128 v[0:3], v15 offset:4224
	ds_load_b128 v[4:7], v15 offset:8448
	;; [unrolled: 1-line block ×7, first 2 shown]
	s_wait_dscnt 0x6
	v_mul_f64_e32 v[12:13], v[86:87], v[2:3]
	s_wait_dscnt 0x5
	v_mul_f64_e32 v[16:17], v[74:75], v[6:7]
	v_mul_f64_e32 v[18:19], v[86:87], v[0:1]
	v_mul_f64_e32 v[20:21], v[74:75], v[4:5]
	s_wait_dscnt 0x4
	v_mul_f64_e32 v[22:23], v[82:83], v[10:11]
	s_wait_dscnt 0x3
	v_mul_f64_e32 v[24:25], v[78:79], v[38:39]
	v_mul_f64_e32 v[26:27], v[82:83], v[8:9]
	v_mul_f64_e32 v[28:29], v[78:79], v[36:37]
	;; [unrolled: 6-line block ×3, first 2 shown]
	v_fma_f64 v[12:13], v[84:85], v[0:1], v[12:13]
	v_fma_f64 v[16:17], v[72:73], v[4:5], v[16:17]
	v_fma_f64 v[18:19], v[84:85], v[2:3], -v[18:19]
	v_fma_f64 v[20:21], v[72:73], v[6:7], -v[20:21]
	v_fma_f64 v[8:9], v[80:81], v[8:9], v[22:23]
	v_fma_f64 v[22:23], v[76:77], v[36:37], v[24:25]
	v_fma_f64 v[10:11], v[80:81], v[10:11], -v[26:27]
	v_fma_f64 v[24:25], v[76:77], v[38:39], -v[28:29]
	ds_load_b128 v[0:3], v15
	ds_load_b128 v[4:7], v15 offset:1408
	v_fma_f64 v[26:27], v[92:93], v[56:57], v[30:31]
	v_fma_f64 v[28:29], v[88:89], v[60:61], v[74:75]
	v_fma_f64 v[30:31], v[92:93], v[58:59], -v[78:79]
	global_wb scope:SCOPE_SE
	s_wait_dscnt 0x0
	s_barrier_signal -1
	s_barrier_wait -1
	global_inv scope:SCOPE_SE
	v_fma_f64 v[60:61], v[88:89], v[62:63], -v[82:83]
	v_add_f64_e32 v[74:75], v[0:1], v[12:13]
	v_add_f64_e32 v[36:37], v[12:13], v[16:17]
	v_add_f64_e64 v[12:13], v[12:13], -v[16:17]
	v_add_f64_e64 v[76:77], v[18:19], -v[20:21]
	v_add_f64_e32 v[38:39], v[18:19], v[20:21]
	v_add_f64_e32 v[18:19], v[2:3], v[18:19]
	;; [unrolled: 1-line block ×8, first 2 shown]
	v_add_f64_e64 v[10:11], v[10:11], -v[24:25]
	v_add_f64_e64 v[8:9], v[8:9], -v[22:23]
	v_add_f64_e32 v[62:63], v[26:27], v[28:29]
	v_add_f64_e64 v[26:27], v[26:27], -v[28:29]
	v_add_f64_e32 v[72:73], v[30:31], v[60:61]
	v_add_f64_e64 v[30:31], v[30:31], -v[60:61]
	v_fma_f64 v[0:1], v[36:37], -0.5, v[0:1]
	v_add_f64_e32 v[36:37], v[74:75], v[16:17]
	v_fma_f64 v[2:3], v[38:39], -0.5, v[2:3]
	v_add_f64_e32 v[38:39], v[18:19], v[20:21]
	v_fma_f64 v[6:7], v[58:59], -0.5, v[6:7]
	v_add_f64_e32 v[58:59], v[80:81], v[24:25]
	v_add_f64_e32 v[92:93], v[82:83], v[28:29]
	v_fma_f64 v[4:5], v[56:57], -0.5, v[4:5]
	v_add_f64_e32 v[56:57], v[78:79], v[22:23]
	v_add_f64_e32 v[94:95], v[84:85], v[60:61]
	v_fma_f64 v[62:63], v[62:63], -0.5, v[116:117]
	v_fma_f64 v[116:117], v[72:73], -0.5, v[118:119]
	v_fma_f64 v[80:81], v[76:77], s[2:3], v[0:1]
	v_fma_f64 v[76:77], v[76:77], s[10:11], v[0:1]
	scratch_load_b32 v0, off, off offset:204 th:TH_LOAD_LU ; 4-byte Folded Reload
	v_fma_f64 v[82:83], v[12:13], s[10:11], v[2:3]
	v_fma_f64 v[78:79], v[12:13], s[2:3], v[2:3]
	s_wait_loadcnt 0x0
	ds_store_b128 v0, v[36:39]
	ds_store_b128 v0, v[80:83] offset:384
	ds_store_b128 v0, v[76:79] offset:768
	scratch_load_b32 v0, off, off offset:196 th:TH_LOAD_LU ; 4-byte Folded Reload
	v_fma_f64 v[84:85], v[10:11], s[2:3], v[4:5]
	v_fma_f64 v[86:87], v[8:9], s[10:11], v[6:7]
	;; [unrolled: 1-line block ×8, first 2 shown]
	s_wait_loadcnt 0x0
	ds_store_b128 v0, v[56:59]
	ds_store_b128 v0, v[84:87] offset:384
	ds_store_b128 v0, v[88:91] offset:768
	scratch_load_b32 v0, off, off offset:192 th:TH_LOAD_LU ; 4-byte Folded Reload
	s_wait_loadcnt 0x0
	ds_store_b128 v0, v[92:95]
	ds_store_b128 v0, v[60:63] offset:384
	ds_store_b128 v0, v[72:75] offset:768
	global_wb scope:SCOPE_SE
	s_wait_dscnt 0x0
	s_barrier_signal -1
	s_barrier_wait -1
	global_inv scope:SCOPE_SE
	s_and_saveexec_b32 s1, s0
	s_cbranch_execz .LBB0_35
; %bb.34:
	ds_load_b128 v[36:39], v15
	ds_load_b128 v[80:83], v15 offset:1152
	ds_load_b128 v[76:79], v15 offset:2304
	;; [unrolled: 1-line block ×10, first 2 shown]
.LBB0_35:
	s_wait_alu 0xfffe
	s_or_b32 exec_lo, exec_lo, s1
	s_and_saveexec_b32 s16, s0
	s_cbranch_execz .LBB0_37
; %bb.36:
	s_wait_dscnt 0x9
	v_mul_f64_e32 v[0:1], v[70:71], v[80:81]
	v_mul_f64_e32 v[2:3], v[70:71], v[82:83]
	s_wait_dscnt 0x3
	v_mul_f64_e32 v[16:17], v[66:67], v[62:63]
	v_mul_f64_e32 v[18:19], v[102:103], v[84:85]
	;; [unrolled: 1-line block ×3, first 2 shown]
	s_wait_dscnt 0x2
	v_mul_f64_e32 v[22:23], v[54:55], v[74:75]
	v_mul_f64_e32 v[24:25], v[98:99], v[78:79]
	s_wait_dscnt 0x1
	v_mul_f64_e32 v[26:27], v[46:47], v[34:35]
	v_mul_f64_e32 v[28:29], v[98:99], v[76:77]
	;; [unrolled: 1-line block ×7, first 2 shown]
	s_wait_dscnt 0x0
	v_mul_f64_e32 v[30:31], v[42:43], v[110:111]
	v_mul_f64_e32 v[66:67], v[66:67], v[60:61]
	;; [unrolled: 1-line block ×4, first 2 shown]
	s_mov_b32 s18, 0x43842ef
	s_mov_b32 s22, 0xbb3a28a1
	;; [unrolled: 1-line block ×11, first 2 shown]
	s_wait_alu 0xfffe
	s_mov_b32 s28, s24
	s_mov_b32 s14, 0x640f44db
	;; [unrolled: 1-line block ×9, first 2 shown]
	v_fma_f64 v[0:1], v[68:69], v[82:83], -v[0:1]
	v_fma_f64 v[2:3], v[68:69], v[80:81], v[2:3]
	v_mul_f64_e32 v[68:69], v[50:51], v[56:57]
	v_mul_f64_e32 v[80:81], v[42:43], v[108:109]
	v_fma_f64 v[50:51], v[64:65], v[60:61], v[16:17]
	v_fma_f64 v[16:17], v[100:101], v[86:87], -v[18:19]
	v_fma_f64 v[18:19], v[48:49], v[56:57], v[20:21]
	v_fma_f64 v[46:47], v[52:53], v[72:73], v[22:23]
	;; [unrolled: 1-line block ×4, first 2 shown]
	v_fma_f64 v[22:23], v[96:97], v[78:79], -v[28:29]
	v_fma_f64 v[4:5], v[104:105], v[88:89], v[4:5]
	v_fma_f64 v[6:7], v[112:113], v[92:93], v[6:7]
	v_fma_f64 v[8:9], v[104:105], v[90:91], -v[8:9]
	v_fma_f64 v[10:11], v[112:113], v[94:95], -v[10:11]
	v_fma_f64 v[12:13], v[100:101], v[84:85], v[12:13]
	v_fma_f64 v[32:33], v[40:41], v[108:109], v[30:31]
	v_fma_f64 v[28:29], v[64:65], v[62:63], -v[66:67]
	v_fma_f64 v[34:35], v[44:45], v[34:35], -v[70:71]
	s_mov_b32 s31, 0x3fefac9e
	s_mov_b32 s35, 0x3fd207e7
	;; [unrolled: 1-line block ×6, first 2 shown]
	v_add_f64_e32 v[24:25], v[38:39], v[0:1]
	v_add_f64_e32 v[26:27], v[36:37], v[2:3]
	v_fma_f64 v[30:31], v[48:49], v[58:59], -v[68:69]
	v_fma_f64 v[48:49], v[52:53], v[74:75], -v[54:55]
	;; [unrolled: 1-line block ×3, first 2 shown]
	v_add_f64_e64 v[54:55], v[18:19], -v[46:47]
	v_add_f64_e32 v[80:81], v[18:19], v[46:47]
	v_add_f64_e64 v[56:57], v[20:21], -v[42:43]
	v_add_f64_e64 v[40:41], v[4:5], -v[6:7]
	v_add_f64_e32 v[76:77], v[4:5], v[6:7]
	v_add_f64_e64 v[60:61], v[8:9], -v[10:11]
	v_add_f64_e64 v[52:53], v[12:13], -v[50:51]
	;; [unrolled: 1-line block ×5, first 2 shown]
	v_add_f64_e32 v[72:73], v[16:17], v[28:29]
	v_add_f64_e32 v[78:79], v[12:13], v[50:51]
	;; [unrolled: 1-line block ×7, first 2 shown]
	v_add_f64_e64 v[64:65], v[30:31], -v[48:49]
	v_add_f64_e64 v[68:69], v[0:1], -v[44:45]
	v_add_f64_e32 v[74:75], v[30:31], v[48:49]
	v_add_f64_e32 v[0:1], v[0:1], v[44:45]
	v_mul_f64_e32 v[122:123], s[20:21], v[54:55]
	v_add_f64_e32 v[20:21], v[20:21], v[42:43]
	v_mul_f64_e32 v[88:89], s[24:25], v[56:57]
	s_wait_alu 0xfffe
	v_mul_f64_e32 v[104:105], s[30:31], v[56:57]
	v_mul_f64_e32 v[124:125], s[34:35], v[56:57]
	;; [unrolled: 1-line block ×28, first 2 shown]
	v_add_f64_e32 v[24:25], v[24:25], v[30:31]
	v_add_f64_e32 v[18:19], v[26:27], v[18:19]
	v_mul_f64_e32 v[30:31], s[20:21], v[62:63]
	v_mul_f64_e32 v[132:133], s[20:21], v[64:65]
	;; [unrolled: 1-line block ×4, first 2 shown]
	s_mov_b32 s21, 0xbfed1bb4
	v_mul_f64_e32 v[156:157], s[28:29], v[68:69]
	v_mul_f64_e32 v[136:137], s[18:19], v[68:69]
	;; [unrolled: 1-line block ×6, first 2 shown]
	s_wait_alu 0xfffe
	v_mul_f64_e32 v[56:57], s[20:21], v[56:57]
	v_fma_f64 v[160:161], v[22:23], s[10:11], v[88:89]
	v_fma_f64 v[88:89], v[22:23], s[10:11], -v[88:89]
	v_fma_f64 v[162:163], v[0:1], s[2:3], v[90:91]
	v_fma_f64 v[174:175], v[0:1], s[12:13], v[106:107]
	v_fma_f64 v[178:179], v[0:1], s[14:15], -v[126:127]
	v_fma_f64 v[180:181], v[0:1], s[10:11], -v[154:155]
	;; [unrolled: 1-line block ×4, first 2 shown]
	v_fma_f64 v[126:127], v[0:1], s[14:15], v[126:127]
	v_fma_f64 v[154:155], v[0:1], s[10:11], v[154:155]
	v_fma_f64 v[170:171], v[20:21], s[10:11], -v[94:95]
	v_fma_f64 v[94:95], v[20:21], s[10:11], v[94:95]
	v_fma_f64 v[186:187], v[22:23], s[2:3], v[124:125]
	v_fma_f64 v[188:189], v[20:21], s[2:3], -v[134:135]
	v_fma_f64 v[124:125], v[22:23], s[2:3], -v[124:125]
	v_fma_f64 v[134:135], v[20:21], s[2:3], v[134:135]
	v_fma_f64 v[190:191], v[22:23], s[12:13], v[144:145]
	v_fma_f64 v[192:193], v[20:21], s[12:13], -v[152:153]
	;; [unrolled: 4-line block ×3, first 2 shown]
	v_fma_f64 v[158:159], v[74:75], s[12:13], v[86:87]
	v_fma_f64 v[86:87], v[74:75], s[12:13], -v[86:87]
	v_add_f64_e32 v[16:17], v[24:25], v[16:17]
	v_add_f64_e32 v[12:13], v[18:19], v[12:13]
	v_mul_f64_e32 v[18:19], s[20:21], v[58:59]
	v_mul_f64_e32 v[24:25], s[20:21], v[68:69]
	v_mul_f64_e32 v[58:59], s[26:27], v[60:61]
	v_mul_f64_e32 v[60:61], s[22:23], v[62:63]
	v_mul_f64_e32 v[62:63], s[18:19], v[64:65]
	v_mul_f64_e32 v[64:65], s[20:21], v[66:67]
	v_fma_f64 v[172:173], v[2:3], s[2:3], -v[96:97]
	v_fma_f64 v[176:177], v[2:3], s[12:13], -v[116:117]
	v_fma_f64 v[182:183], v[2:3], s[10:11], v[156:157]
	v_fma_f64 v[96:97], v[2:3], s[2:3], v[96:97]
	;; [unrolled: 1-line block ×4, first 2 shown]
	v_fma_f64 v[136:137], v[2:3], s[14:15], -v[136:137]
	v_fma_f64 v[194:195], v[22:23], s[0:1], v[56:57]
	v_fma_f64 v[168:169], v[80:81], s[12:13], -v[92:93]
	v_fma_f64 v[92:93], v[80:81], s[12:13], v[92:93]
	v_mul_f64_e32 v[118:119], s[22:23], v[40:41]
	v_mul_f64_e32 v[138:139], s[24:25], v[40:41]
	v_add_f64_e32 v[90:91], v[38:39], v[90:91]
	v_add_f64_e32 v[106:107], v[38:39], v[106:107]
	v_mul_f64_e32 v[40:41], s[26:27], v[40:41]
	v_fma_f64 v[68:69], v[72:73], s[0:1], v[84:85]
	v_fma_f64 v[166:167], v[78:79], s[0:1], -v[30:31]
	v_fma_f64 v[84:85], v[72:73], s[0:1], -v[84:85]
	v_fma_f64 v[30:31], v[78:79], s[0:1], v[30:31]
	v_fma_f64 v[66:67], v[70:71], s[14:15], v[82:83]
	v_fma_f64 v[82:83], v[70:71], s[14:15], -v[82:83]
	v_fma_f64 v[164:165], v[76:77], s[14:15], -v[26:27]
	v_fma_f64 v[26:27], v[76:77], s[14:15], v[26:27]
	v_add_f64_e32 v[8:9], v[16:17], v[8:9]
	v_add_f64_e32 v[4:5], v[12:13], v[4:5]
	v_fma_f64 v[12:13], v[0:1], s[0:1], -v[18:19]
	v_fma_f64 v[16:17], v[2:3], s[0:1], v[24:25]
	v_fma_f64 v[0:1], v[0:1], s[0:1], v[18:19]
	v_fma_f64 v[18:19], v[2:3], s[0:1], -v[24:25]
	v_fma_f64 v[2:3], v[2:3], s[10:11], -v[156:157]
	v_fma_f64 v[24:25], v[22:23], s[14:15], v[104:105]
	v_fma_f64 v[156:157], v[20:21], s[14:15], -v[114:115]
	v_fma_f64 v[104:105], v[22:23], s[14:15], -v[104:105]
	;; [unrolled: 3-line block ×3, first 2 shown]
	v_fma_f64 v[20:21], v[20:21], s[0:1], v[64:65]
	v_add_f64_e32 v[56:57], v[38:39], v[162:163]
	v_add_f64_e32 v[64:65], v[36:37], v[172:173]
	v_add_f64_e32 v[162:163], v[38:39], v[174:175]
	v_add_f64_e32 v[172:173], v[36:37], v[176:177]
	v_add_f64_e32 v[174:175], v[38:39], v[178:179]
	v_add_f64_e32 v[176:177], v[38:39], v[180:181]
	v_add_f64_e32 v[178:179], v[36:37], v[182:183]
	v_add_f64_e32 v[96:97], v[36:37], v[96:97]
	v_fma_f64 v[200:201], v[80:81], s[14:15], -v[62:63]
	v_fma_f64 v[62:63], v[80:81], s[14:15], v[62:63]
	v_fma_f64 v[180:181], v[80:81], s[0:1], -v[132:133]
	v_fma_f64 v[132:133], v[80:81], s[0:1], v[132:133]
	v_fma_f64 v[182:183], v[74:75], s[2:3], v[142:143]
	v_fma_f64 v[142:143], v[74:75], s[2:3], -v[142:143]
	v_add_f64_e32 v[8:9], v[8:9], v[10:11]
	v_add_f64_e32 v[4:5], v[4:5], v[6:7]
	;; [unrolled: 1-line block ×12, first 2 shown]
	v_fma_f64 v[36:37], v[74:75], s[10:11], v[102:103]
	v_fma_f64 v[38:39], v[80:81], s[10:11], -v[112:113]
	v_fma_f64 v[102:103], v[74:75], s[10:11], -v[102:103]
	v_fma_f64 v[112:113], v[80:81], s[10:11], v[112:113]
	v_fma_f64 v[154:155], v[74:75], s[0:1], v[122:123]
	v_fma_f64 v[122:123], v[74:75], s[0:1], -v[122:123]
	v_fma_f64 v[184:185], v[80:81], s[2:3], -v[150:151]
	v_add_f64_e32 v[22:23], v[22:23], v[176:177]
	v_add_f64_e32 v[20:21], v[20:21], v[178:179]
	v_fma_f64 v[150:151], v[80:81], s[2:3], v[150:151]
	v_add_f64_e32 v[56:57], v[160:161], v[56:57]
	v_add_f64_e32 v[74:75], v[88:89], v[90:91]
	v_add_f64_e32 v[80:81], v[94:95], v[96:97]
	v_add_f64_e32 v[24:25], v[24:25], v[162:163]
	v_add_f64_e32 v[88:89], v[156:157], v[172:173]
	v_add_f64_e32 v[90:91], v[104:105], v[106:107]
	v_add_f64_e32 v[94:95], v[124:125], v[174:175]
	v_add_f64_e32 v[64:65], v[170:171], v[64:65]
	v_fma_f64 v[104:105], v[72:73], s[2:3], v[100:101]
	v_fma_f64 v[100:101], v[72:73], s[2:3], -v[100:101]
	v_fma_f64 v[106:107], v[78:79], s[2:3], -v[110:111]
	v_fma_f64 v[110:111], v[78:79], s[2:3], v[110:111]
	v_fma_f64 v[124:125], v[78:79], s[10:11], v[130:131]
	v_add_f64_e32 v[8:9], v[8:9], v[28:29]
	v_add_f64_e32 v[4:5], v[4:5], v[50:51]
	;; [unrolled: 1-line block ×12, first 2 shown]
	v_fma_f64 v[126:127], v[72:73], s[14:15], v[140:141]
	v_fma_f64 v[134:135], v[72:73], s[14:15], -v[140:141]
	v_fma_f64 v[140:141], v[72:73], s[12:13], v[52:53]
	v_fma_f64 v[144:145], v[78:79], s[12:13], -v[60:61]
	v_fma_f64 v[52:53], v[72:73], s[12:13], -v[52:53]
	v_fma_f64 v[60:61], v[78:79], s[12:13], v[60:61]
	v_fma_f64 v[114:115], v[72:73], s[10:11], v[120:121]
	v_add_f64_e32 v[22:23], v[54:55], v[22:23]
	v_add_f64_e32 v[20:21], v[62:63], v[20:21]
	v_fma_f64 v[120:121], v[72:73], s[10:11], -v[120:121]
	v_fma_f64 v[136:137], v[78:79], s[14:15], v[148:149]
	v_add_f64_e32 v[56:57], v[158:159], v[56:57]
	v_add_f64_e32 v[72:73], v[86:87], v[74:75]
	;; [unrolled: 1-line block ×4, first 2 shown]
	v_fma_f64 v[116:117], v[78:79], s[10:11], -v[130:131]
	v_fma_f64 v[130:131], v[78:79], s[14:15], -v[148:149]
	v_add_f64_e32 v[36:37], v[38:39], v[88:89]
	v_add_f64_e32 v[38:39], v[102:103], v[90:91]
	;; [unrolled: 1-line block ×4, first 2 shown]
	v_fma_f64 v[54:55], v[76:77], s[0:1], -v[108:109]
	v_fma_f64 v[80:81], v[76:77], s[0:1], v[108:109]
	v_fma_f64 v[108:109], v[70:71], s[2:3], v[40:41]
	v_fma_f64 v[40:41], v[70:71], s[2:3], -v[40:41]
	v_fma_f64 v[62:63], v[70:71], s[0:1], -v[98:99]
	v_add_f64_e32 v[8:9], v[8:9], v[48:49]
	v_add_f64_e32 v[4:5], v[4:5], v[46:47]
	;; [unrolled: 1-line block ×12, first 2 shown]
	v_fma_f64 v[112:113], v[76:77], s[2:3], -v[58:59]
	v_fma_f64 v[58:59], v[76:77], s[2:3], v[58:59]
	v_fma_f64 v[50:51], v[70:71], s[0:1], v[98:99]
	v_fma_f64 v[98:99], v[70:71], s[10:11], -v[138:139]
	v_fma_f64 v[102:103], v[76:77], s[10:11], v[146:147]
	v_fma_f64 v[86:87], v[70:71], s[12:13], v[118:119]
	v_fma_f64 v[90:91], v[70:71], s[12:13], -v[118:119]
	v_add_f64_e32 v[22:23], v[52:53], v[22:23]
	v_add_f64_e32 v[20:21], v[60:61], v[20:21]
	v_fma_f64 v[92:93], v[76:77], s[12:13], v[128:129]
	v_fma_f64 v[94:95], v[70:71], s[10:11], v[138:139]
	v_add_f64_e32 v[56:57], v[68:69], v[56:57]
	v_add_f64_e32 v[68:69], v[84:85], v[72:73]
	;; [unrolled: 1-line block ×4, first 2 shown]
	v_fma_f64 v[88:89], v[76:77], s[12:13], -v[128:129]
	v_fma_f64 v[96:97], v[76:77], s[10:11], -v[146:147]
	v_add_f64_e32 v[36:37], v[106:107], v[36:37]
	v_add_f64_e32 v[38:39], v[100:101], v[38:39]
	;; [unrolled: 1-line block ×38, first 2 shown]
	v_lshl_add_u32 v12, v14, 4, v255
	ds_store_b128 v15, v[44:47]
	ds_store_b128 v12, v[40:43] offset:1152
	ds_store_b128 v12, v[48:51] offset:2304
	;; [unrolled: 1-line block ×10, first 2 shown]
.LBB0_37:
	s_wait_alu 0xfffe
	s_or_b32 exec_lo, exec_lo, s16
	global_wb scope:SCOPE_SE
	s_wait_dscnt 0x0
	s_barrier_signal -1
	s_barrier_wait -1
	global_inv scope:SCOPE_SE
	ds_load_b128 v[0:3], v15
	ds_load_b128 v[4:7], v15 offset:6336
	ds_load_b128 v[8:11], v15 offset:1408
	;; [unrolled: 1-line block ×7, first 2 shown]
	s_clause 0x2
	scratch_load_b128 v[73:76], off, off offset:20 th:TH_LOAD_LU
	scratch_load_b64 v[66:67], off, off offset:12 th:TH_LOAD_LU
	scratch_load_b128 v[79:82], off, off offset:52 th:TH_LOAD_LU
	v_mad_co_u64_u32 v[68:69], null, s4, v14, 0
	s_mov_b32 s2, 0xa052bf5b
	s_mov_b32 s3, 0x3f54afd6
	s_movk_i32 s10, 0xfecc
	s_mov_b32 s11, -1
	s_wait_loadcnt_dscnt 0x207
	v_mul_f64_e32 v[12:13], v[75:76], v[2:3]
	v_mul_f64_e32 v[16:17], v[75:76], v[0:1]
	scratch_load_b128 v[75:78], off, off offset:36 th:TH_LOAD_LU ; 16-byte Folded Reload
	s_wait_loadcnt_dscnt 0x106
	v_mul_f64_e32 v[18:19], v[81:82], v[6:7]
	v_mul_f64_e32 v[20:21], v[81:82], v[4:5]
	scratch_load_b128 v[81:84], off, off offset:68 th:TH_LOAD_LU ; 16-byte Folded Reload
	v_mov_b32_e32 v70, v66
	s_delay_alu instid0(VALU_DEP_1) | instskip(NEXT) | instid1(VALU_DEP_1)
	v_mad_co_u64_u32 v[66:67], null, s6, v70, 0
	v_mad_co_u64_u32 v[70:71], null, s7, v70, v[67:68]
	v_mov_b32_e32 v67, v69
	s_mul_u64 s[6:7], s[4:5], 0x18c
	s_wait_alu 0xfffe
	s_lshl_b64 s[6:7], s[6:7], 4
	s_delay_alu instid0(VALU_DEP_1) | instskip(NEXT) | instid1(VALU_DEP_3)
	v_mad_co_u64_u32 v[71:72], null, s5, v14, v[67:68]
	v_mov_b32_e32 v67, v70
	s_mul_u64 s[4:5], s[4:5], s[10:11]
	s_wait_alu 0xfffe
	s_lshl_b64 s[4:5], s[4:5], 4
	s_delay_alu instid0(VALU_DEP_2)
	v_mov_b32_e32 v69, v71
	v_fma_f64 v[0:1], v[73:74], v[0:1], v[12:13]
	v_fma_f64 v[12:13], v[73:74], v[2:3], -v[16:17]
	v_lshlrev_b64_e32 v[2:3], 4, v[66:67]
	v_fma_f64 v[16:17], v[79:80], v[4:5], v[18:19]
	v_fma_f64 v[18:19], v[79:80], v[6:7], -v[20:21]
	v_lshlrev_b64_e32 v[4:5], 4, v[68:69]
	s_delay_alu instid0(VALU_DEP_4)
	v_add_co_u32 v2, s0, s8, v2
	s_wait_alu 0xf1ff
	v_add_co_ci_u32_e64 v3, s0, s9, v3, s0
	v_mul_f64_e32 v[6:7], s[2:3], v[16:17]
	s_wait_loadcnt_dscnt 0x105
	v_mul_f64_e32 v[22:23], v[77:78], v[10:11]
	v_mul_f64_e32 v[24:25], v[77:78], v[8:9]
	s_wait_loadcnt_dscnt 0x4
	v_mul_f64_e32 v[26:27], v[83:84], v[34:35]
	v_mul_f64_e32 v[28:29], v[83:84], v[32:33]
	scratch_load_b128 v[83:86], off, off offset:84 th:TH_LOAD_LU ; 16-byte Folded Reload
	v_fma_f64 v[20:21], v[75:76], v[8:9], v[22:23]
	v_fma_f64 v[22:23], v[75:76], v[10:11], -v[24:25]
	v_mul_f64_e32 v[8:9], s[2:3], v[18:19]
	v_fma_f64 v[24:25], v[81:82], v[32:33], v[26:27]
	v_fma_f64 v[26:27], v[81:82], v[34:35], -v[28:29]
	v_mul_f64_e32 v[10:11], s[2:3], v[20:21]
	s_delay_alu instid0(VALU_DEP_3) | instskip(NEXT) | instid1(VALU_DEP_3)
	v_mul_f64_e32 v[16:17], s[2:3], v[24:25]
	v_mul_f64_e32 v[18:19], s[2:3], v[26:27]
	s_wait_loadcnt_dscnt 0x3
	v_mul_f64_e32 v[30:31], v[85:86], v[38:39]
	v_mul_f64_e32 v[52:53], v[85:86], v[36:37]
	scratch_load_b128 v[85:88], off, off offset:100 th:TH_LOAD_LU ; 16-byte Folded Reload
	v_fma_f64 v[28:29], v[83:84], v[36:37], v[30:31]
	v_fma_f64 v[30:31], v[83:84], v[38:39], -v[52:53]
	s_delay_alu instid0(VALU_DEP_2)
	v_mul_f64_e32 v[20:21], s[2:3], v[28:29]
	s_wait_loadcnt_dscnt 0x2
	v_mul_f64_e32 v[54:55], v[87:88], v[42:43]
	v_mul_f64_e32 v[56:57], v[87:88], v[40:41]
	scratch_load_b128 v[87:90], off, off offset:116 th:TH_LOAD_LU ; 16-byte Folded Reload
	v_fma_f64 v[32:33], v[85:86], v[40:41], v[54:55]
	v_fma_f64 v[34:35], v[85:86], v[42:43], -v[56:57]
	s_delay_alu instid0(VALU_DEP_2) | instskip(NEXT) | instid1(VALU_DEP_2)
	v_mul_f64_e32 v[24:25], s[2:3], v[32:33]
	v_mul_f64_e32 v[26:27], s[2:3], v[34:35]
	s_wait_loadcnt_dscnt 0x1
	v_mul_f64_e32 v[58:59], v[89:90], v[46:47]
	v_mul_f64_e32 v[60:61], v[89:90], v[44:45]
	scratch_load_b128 v[89:92], off, off offset:132 th:TH_LOAD_LU ; 16-byte Folded Reload
	v_fma_f64 v[36:37], v[87:88], v[44:45], v[58:59]
	v_fma_f64 v[38:39], v[87:88], v[46:47], -v[60:61]
	v_add_co_u32 v44, s0, v2, v4
	s_wait_alu 0xf1ff
	v_add_co_ci_u32_e64 v45, s0, v3, v5, s0
	v_mul_f64_e32 v[2:3], s[2:3], v[0:1]
	v_mul_f64_e32 v[4:5], s[2:3], v[12:13]
	v_add_co_u32 v46, s0, v44, s6
	v_mul_f64_e32 v[12:13], s[2:3], v[22:23]
	s_wait_alu 0xf1ff
	v_add_co_ci_u32_e64 v47, s0, s7, v45, s0
	v_mul_f64_e32 v[22:23], s[2:3], v[30:31]
	v_mul_f64_e32 v[28:29], s[2:3], v[36:37]
	;; [unrolled: 1-line block ×3, first 2 shown]
	s_wait_alu 0xfffe
	v_add_co_u32 v36, s0, v46, s4
	s_wait_alu 0xf1ff
	v_add_co_ci_u32_e64 v37, s0, s5, v47, s0
	s_delay_alu instid0(VALU_DEP_2) | instskip(SKIP_1) | instid1(VALU_DEP_2)
	v_add_co_u32 v38, s0, v36, s6
	s_wait_alu 0xf1ff
	v_add_co_ci_u32_e64 v39, s0, s7, v37, s0
	s_wait_loadcnt_dscnt 0x0
	v_mul_f64_e32 v[62:63], v[91:92], v[50:51]
	v_mul_f64_e32 v[64:65], v[91:92], v[48:49]
	s_delay_alu instid0(VALU_DEP_2) | instskip(NEXT) | instid1(VALU_DEP_2)
	v_fma_f64 v[40:41], v[89:90], v[48:49], v[62:63]
	v_fma_f64 v[42:43], v[89:90], v[50:51], -v[64:65]
	s_delay_alu instid0(VALU_DEP_2) | instskip(NEXT) | instid1(VALU_DEP_2)
	v_mul_f64_e32 v[32:33], s[2:3], v[40:41]
	v_mul_f64_e32 v[34:35], s[2:3], v[42:43]
	v_add_co_u32 v40, s0, v38, s4
	s_wait_alu 0xf1ff
	v_add_co_ci_u32_e64 v41, s0, s5, v39, s0
	s_delay_alu instid0(VALU_DEP_2) | instskip(SKIP_1) | instid1(VALU_DEP_2)
	v_add_co_u32 v42, s0, v40, s6
	s_wait_alu 0xf1ff
	v_add_co_ci_u32_e64 v43, s0, s7, v41, s0
	s_delay_alu instid0(VALU_DEP_2) | instskip(SKIP_1) | instid1(VALU_DEP_2)
	;; [unrolled: 4-line block ×3, first 2 shown]
	v_add_co_u32 v0, s0, v48, s6
	s_wait_alu 0xf1ff
	v_add_co_ci_u32_e64 v1, s0, s7, v49, s0
	s_clause 0x4
	global_store_b128 v[44:45], v[2:5], off
	global_store_b128 v[46:47], v[6:9], off
	;; [unrolled: 1-line block ×8, first 2 shown]
	s_and_b32 exec_lo, exec_lo, vcc_lo
	s_cbranch_execz .LBB0_39
; %bb.38:
	scratch_load_b64 v[6:7], off, off th:TH_LOAD_LU ; 8-byte Folded Reload
	v_add_co_u32 v0, vcc_lo, v0, s4
	s_wait_alu 0xfffd
	v_add_co_ci_u32_e32 v1, vcc_lo, s5, v1, vcc_lo
	s_wait_loadcnt 0x0
	s_clause 0x1
	global_load_b128 v[2:5], v[6:7], off offset:5632
	global_load_b128 v[6:9], v[6:7], off offset:11968
	ds_load_b128 v[10:13], v15 offset:5632
	ds_load_b128 v[14:17], v15 offset:11968
	s_wait_loadcnt_dscnt 0x101
	v_mul_f64_e32 v[18:19], v[12:13], v[4:5]
	v_mul_f64_e32 v[4:5], v[10:11], v[4:5]
	s_wait_loadcnt_dscnt 0x0
	v_mul_f64_e32 v[20:21], v[16:17], v[8:9]
	v_mul_f64_e32 v[8:9], v[14:15], v[8:9]
	s_delay_alu instid0(VALU_DEP_4) | instskip(NEXT) | instid1(VALU_DEP_4)
	v_fma_f64 v[10:11], v[10:11], v[2:3], v[18:19]
	v_fma_f64 v[4:5], v[2:3], v[12:13], -v[4:5]
	s_delay_alu instid0(VALU_DEP_4) | instskip(NEXT) | instid1(VALU_DEP_4)
	v_fma_f64 v[12:13], v[14:15], v[6:7], v[20:21]
	v_fma_f64 v[8:9], v[6:7], v[16:17], -v[8:9]
	s_delay_alu instid0(VALU_DEP_4) | instskip(NEXT) | instid1(VALU_DEP_4)
	v_mul_f64_e32 v[2:3], s[2:3], v[10:11]
	v_mul_f64_e32 v[4:5], s[2:3], v[4:5]
	s_delay_alu instid0(VALU_DEP_4) | instskip(NEXT) | instid1(VALU_DEP_4)
	v_mul_f64_e32 v[6:7], s[2:3], v[12:13]
	v_mul_f64_e32 v[8:9], s[2:3], v[8:9]
	v_add_co_u32 v10, vcc_lo, v0, s6
	s_wait_alu 0xfffd
	v_add_co_ci_u32_e32 v11, vcc_lo, s7, v1, vcc_lo
	global_store_b128 v[0:1], v[2:5], off
	global_store_b128 v[10:11], v[6:9], off
.LBB0_39:
	s_nop 0
	s_sendmsg sendmsg(MSG_DEALLOC_VGPRS)
	s_endpgm
	.section	.rodata,"a",@progbits
	.p2align	6, 0x0
	.amdhsa_kernel bluestein_single_back_len792_dim1_dp_op_CI_CI
		.amdhsa_group_segment_fixed_size 25344
		.amdhsa_private_segment_fixed_size 248
		.amdhsa_kernarg_size 104
		.amdhsa_user_sgpr_count 2
		.amdhsa_user_sgpr_dispatch_ptr 0
		.amdhsa_user_sgpr_queue_ptr 0
		.amdhsa_user_sgpr_kernarg_segment_ptr 1
		.amdhsa_user_sgpr_dispatch_id 0
		.amdhsa_user_sgpr_private_segment_size 0
		.amdhsa_wavefront_size32 1
		.amdhsa_uses_dynamic_stack 0
		.amdhsa_enable_private_segment 1
		.amdhsa_system_sgpr_workgroup_id_x 1
		.amdhsa_system_sgpr_workgroup_id_y 0
		.amdhsa_system_sgpr_workgroup_id_z 0
		.amdhsa_system_sgpr_workgroup_info 0
		.amdhsa_system_vgpr_workitem_id 0
		.amdhsa_next_free_vgpr 256
		.amdhsa_next_free_sgpr 42
		.amdhsa_reserve_vcc 1
		.amdhsa_float_round_mode_32 0
		.amdhsa_float_round_mode_16_64 0
		.amdhsa_float_denorm_mode_32 3
		.amdhsa_float_denorm_mode_16_64 3
		.amdhsa_fp16_overflow 0
		.amdhsa_workgroup_processor_mode 1
		.amdhsa_memory_ordered 1
		.amdhsa_forward_progress 0
		.amdhsa_round_robin_scheduling 0
		.amdhsa_exception_fp_ieee_invalid_op 0
		.amdhsa_exception_fp_denorm_src 0
		.amdhsa_exception_fp_ieee_div_zero 0
		.amdhsa_exception_fp_ieee_overflow 0
		.amdhsa_exception_fp_ieee_underflow 0
		.amdhsa_exception_fp_ieee_inexact 0
		.amdhsa_exception_int_div_zero 0
	.end_amdhsa_kernel
	.text
.Lfunc_end0:
	.size	bluestein_single_back_len792_dim1_dp_op_CI_CI, .Lfunc_end0-bluestein_single_back_len792_dim1_dp_op_CI_CI
                                        ; -- End function
	.section	.AMDGPU.csdata,"",@progbits
; Kernel info:
; codeLenInByte = 15776
; NumSgprs: 44
; NumVgprs: 256
; ScratchSize: 248
; MemoryBound: 0
; FloatMode: 240
; IeeeMode: 1
; LDSByteSize: 25344 bytes/workgroup (compile time only)
; SGPRBlocks: 5
; VGPRBlocks: 31
; NumSGPRsForWavesPerEU: 44
; NumVGPRsForWavesPerEU: 256
; Occupancy: 5
; WaveLimiterHint : 1
; COMPUTE_PGM_RSRC2:SCRATCH_EN: 1
; COMPUTE_PGM_RSRC2:USER_SGPR: 2
; COMPUTE_PGM_RSRC2:TRAP_HANDLER: 0
; COMPUTE_PGM_RSRC2:TGID_X_EN: 1
; COMPUTE_PGM_RSRC2:TGID_Y_EN: 0
; COMPUTE_PGM_RSRC2:TGID_Z_EN: 0
; COMPUTE_PGM_RSRC2:TIDIG_COMP_CNT: 0
	.text
	.p2alignl 7, 3214868480
	.fill 96, 4, 3214868480
	.type	__hip_cuid_57f627ae57015583,@object ; @__hip_cuid_57f627ae57015583
	.section	.bss,"aw",@nobits
	.globl	__hip_cuid_57f627ae57015583
__hip_cuid_57f627ae57015583:
	.byte	0                               ; 0x0
	.size	__hip_cuid_57f627ae57015583, 1

	.ident	"AMD clang version 19.0.0git (https://github.com/RadeonOpenCompute/llvm-project roc-6.4.0 25133 c7fe45cf4b819c5991fe208aaa96edf142730f1d)"
	.section	".note.GNU-stack","",@progbits
	.addrsig
	.addrsig_sym __hip_cuid_57f627ae57015583
	.amdgpu_metadata
---
amdhsa.kernels:
  - .args:
      - .actual_access:  read_only
        .address_space:  global
        .offset:         0
        .size:           8
        .value_kind:     global_buffer
      - .actual_access:  read_only
        .address_space:  global
        .offset:         8
        .size:           8
        .value_kind:     global_buffer
      - .actual_access:  read_only
        .address_space:  global
        .offset:         16
        .size:           8
        .value_kind:     global_buffer
      - .actual_access:  read_only
        .address_space:  global
        .offset:         24
        .size:           8
        .value_kind:     global_buffer
      - .actual_access:  read_only
        .address_space:  global
        .offset:         32
        .size:           8
        .value_kind:     global_buffer
      - .offset:         40
        .size:           8
        .value_kind:     by_value
      - .address_space:  global
        .offset:         48
        .size:           8
        .value_kind:     global_buffer
      - .address_space:  global
        .offset:         56
        .size:           8
        .value_kind:     global_buffer
      - .address_space:  global
        .offset:         64
        .size:           8
        .value_kind:     global_buffer
      - .address_space:  global
        .offset:         72
        .size:           8
        .value_kind:     global_buffer
      - .offset:         80
        .size:           4
        .value_kind:     by_value
      - .address_space:  global
        .offset:         88
        .size:           8
        .value_kind:     global_buffer
      - .address_space:  global
        .offset:         96
        .size:           8
        .value_kind:     global_buffer
    .group_segment_fixed_size: 25344
    .kernarg_segment_align: 8
    .kernarg_segment_size: 104
    .language:       OpenCL C
    .language_version:
      - 2
      - 0
    .max_flat_workgroup_size: 176
    .name:           bluestein_single_back_len792_dim1_dp_op_CI_CI
    .private_segment_fixed_size: 248
    .sgpr_count:     44
    .sgpr_spill_count: 0
    .symbol:         bluestein_single_back_len792_dim1_dp_op_CI_CI.kd
    .uniform_work_group_size: 1
    .uses_dynamic_stack: false
    .vgpr_count:     256
    .vgpr_spill_count: 61
    .wavefront_size: 32
    .workgroup_processor_mode: 1
amdhsa.target:   amdgcn-amd-amdhsa--gfx1201
amdhsa.version:
  - 1
  - 2
...

	.end_amdgpu_metadata
